;; amdgpu-corpus repo=ROCm/rocFFT kind=compiled arch=gfx1201 opt=O3
	.text
	.amdgcn_target "amdgcn-amd-amdhsa--gfx1201"
	.amdhsa_code_object_version 6
	.protected	bluestein_single_back_len544_dim1_sp_op_CI_CI ; -- Begin function bluestein_single_back_len544_dim1_sp_op_CI_CI
	.globl	bluestein_single_back_len544_dim1_sp_op_CI_CI
	.p2align	8
	.type	bluestein_single_back_len544_dim1_sp_op_CI_CI,@function
bluestein_single_back_len544_dim1_sp_op_CI_CI: ; @bluestein_single_back_len544_dim1_sp_op_CI_CI
; %bb.0:
	s_load_b128 s[8:11], s[0:1], 0x28
	v_mul_u32_u24_e32 v1, 0x788, v0
	s_mov_b32 s2, exec_lo
	s_delay_alu instid0(VALU_DEP_1) | instskip(NEXT) | instid1(VALU_DEP_1)
	v_lshrrev_b32_e32 v1, 16, v1
	v_mad_co_u64_u32 v[60:61], null, ttmp9, 3, v[1:2]
	v_mov_b32_e32 v61, 0
                                        ; kill: def $vgpr2 killed $sgpr0 killed $exec
	s_wait_kmcnt 0x0
	s_delay_alu instid0(VALU_DEP_1)
	v_cmpx_gt_u64_e64 s[8:9], v[60:61]
	s_cbranch_execz .LBB0_15
; %bb.1:
	v_mul_hi_u32 v2, 0xaaaaaaab, v60
	v_mul_lo_u16 v1, v1, 34
	s_clause 0x1
	s_load_b64 s[8:9], s[0:1], 0x0
	s_load_b64 s[12:13], s[0:1], 0x38
	s_delay_alu instid0(VALU_DEP_1) | instskip(NEXT) | instid1(VALU_DEP_3)
	v_sub_nc_u16 v0, v0, v1
	v_lshrrev_b32_e32 v1, 1, v2
	s_delay_alu instid0(VALU_DEP_2) | instskip(SKIP_1) | instid1(VALU_DEP_3)
	v_and_b32_e32 v116, 0xffff, v0
	v_cmp_gt_u16_e32 vcc_lo, 32, v0
	v_lshl_add_u32 v0, v1, 1, v1
	s_delay_alu instid0(VALU_DEP_3) | instskip(SKIP_1) | instid1(VALU_DEP_3)
	v_lshlrev_b32_e32 v100, 3, v116
	v_or_b32_e32 v115, 32, v116
	v_sub_nc_u32_e32 v0, v60, v0
	v_or_b32_e32 v114, 64, v116
	v_or_b32_e32 v113, 0x60, v116
	;; [unrolled: 1-line block ×4, first 2 shown]
	v_mul_u32_u24_e32 v50, 0x220, v0
	v_or_b32_e32 v110, 0xc0, v116
	v_or_b32_e32 v109, 0xe0, v116
	;; [unrolled: 1-line block ×11, first 2 shown]
	v_lshlrev_b32_e32 v117, 3, v0
	v_or_b32_e32 v99, 0x200, v116
	s_and_saveexec_b32 s3, vcc_lo
	s_cbranch_execz .LBB0_3
; %bb.2:
	s_load_b64 s[4:5], s[0:1], 0x18
	s_wait_kmcnt 0x0
	s_load_b128 s[4:7], s[4:5], 0x0
	s_wait_kmcnt 0x0
	v_mad_co_u64_u32 v[0:1], null, s6, v60, 0
	v_mad_co_u64_u32 v[2:3], null, s4, v116, 0
	;; [unrolled: 1-line block ×5, first 2 shown]
	s_delay_alu instid0(VALU_DEP_4) | instskip(NEXT) | instid1(VALU_DEP_4)
	v_mad_co_u64_u32 v[18:19], null, s7, v60, v[1:2]
	v_mad_co_u64_u32 v[19:20], null, s5, v116, v[3:4]
	;; [unrolled: 1-line block ×4, first 2 shown]
	s_delay_alu instid0(VALU_DEP_4) | instskip(SKIP_3) | instid1(VALU_DEP_4)
	v_mov_b32_e32 v1, v18
	v_mad_co_u64_u32 v[21:22], null, s5, v114, v[7:8]
	v_mad_co_u64_u32 v[31:32], null, s4, v105, 0
	v_mov_b32_e32 v3, v19
	v_lshlrev_b64_e32 v[0:1], 3, v[0:1]
	v_mad_co_u64_u32 v[22:23], null, s5, v113, v[9:10]
	v_mov_b32_e32 v5, v20
	s_delay_alu instid0(VALU_DEP_4)
	v_lshlrev_b64_e32 v[2:3], 3, v[2:3]
	v_mov_b32_e32 v7, v21
	v_add_co_u32 v59, s2, s10, v0
	v_mad_co_u64_u32 v[12:13], null, s4, v111, 0
	v_lshlrev_b64_e32 v[4:5], 3, v[4:5]
	v_add_co_ci_u32_e64 v69, s2, s11, v1, s2
	v_mov_b32_e32 v9, v22
	v_lshlrev_b64_e32 v[6:7], 3, v[6:7]
	v_add_co_u32 v2, s2, v59, v2
	s_wait_alu 0xf1ff
	v_add_co_ci_u32_e64 v3, s2, v69, v3, s2
	v_lshlrev_b64_e32 v[0:1], 3, v[8:9]
	v_add_co_u32 v4, s2, v59, v4
	v_mad_co_u64_u32 v[23:24], null, s5, v112, v[11:12]
	s_wait_alu 0xf1ff
	v_add_co_ci_u32_e64 v5, s2, v69, v5, s2
	v_add_co_u32 v6, s2, v59, v6
	s_wait_alu 0xf1ff
	v_add_co_ci_u32_e64 v7, s2, v69, v7, s2
	v_add_co_u32 v0, s2, v59, v0
	s_wait_alu 0xf1ff
	v_add_co_ci_u32_e64 v1, s2, v69, v1, s2
	v_mov_b32_e32 v11, v23
	s_clause 0x3
	global_load_b64 v[2:3], v[2:3], off
	global_load_b64 v[4:5], v[4:5], off
	;; [unrolled: 1-line block ×4, first 2 shown]
	s_clause 0x3
	global_load_b64 v[8:9], v100, s[8:9]
	global_load_b64 v[18:19], v100, s[8:9] offset:256
	global_load_b64 v[20:21], v100, s[8:9] offset:512
	;; [unrolled: 1-line block ×3, first 2 shown]
	v_mad_co_u64_u32 v[14:15], null, s4, v110, 0
	v_mad_co_u64_u32 v[16:17], null, s4, v109, 0
	v_mad_co_u64_u32 v[45:46], null, s4, v102, 0
	s_delay_alu instid0(VALU_DEP_3) | instskip(NEXT) | instid1(VALU_DEP_3)
	v_mad_co_u64_u32 v[24:25], null, s5, v111, v[13:14]
	v_mad_co_u64_u32 v[25:26], null, s5, v110, v[15:16]
	s_delay_alu instid0(VALU_DEP_2) | instskip(NEXT) | instid1(VALU_DEP_2)
	v_mov_b32_e32 v13, v24
	v_mov_b32_e32 v15, v25
	v_mad_co_u64_u32 v[24:25], null, s4, v108, 0
	s_wait_loadcnt 0x2
	v_dual_mul_f32 v73, v3, v9 :: v_dual_mul_f32 v76, v4, v19
	v_mad_co_u64_u32 v[26:27], null, s5, v109, v[17:18]
	s_wait_loadcnt 0x1
	v_dual_mul_f32 v80, v6, v21 :: v_dual_mul_f32 v75, v5, v19
	s_delay_alu instid0(VALU_DEP_3) | instskip(SKIP_1) | instid1(VALU_DEP_4)
	v_fma_f32 v76, v5, v18, -v76
	v_fmac_f32_e32 v73, v2, v8
	v_mov_b32_e32 v17, v26
	v_mad_co_u64_u32 v[26:27], null, s4, v107, 0
	v_fmac_f32_e32 v75, v4, v18
	s_delay_alu instid0(VALU_DEP_3) | instskip(NEXT) | instid1(VALU_DEP_3)
	v_lshlrev_b64_e32 v[16:17], 3, v[16:17]
	v_mad_co_u64_u32 v[28:29], null, s5, v108, v[25:26]
	v_mad_co_u64_u32 v[29:30], null, s4, v106, 0
	s_delay_alu instid0(VALU_DEP_2) | instskip(SKIP_1) | instid1(VALU_DEP_3)
	v_mov_b32_e32 v25, v28
	v_mad_co_u64_u32 v[27:28], null, s5, v107, v[27:28]
	v_mov_b32_e32 v28, v30
	s_delay_alu instid0(VALU_DEP_1) | instskip(SKIP_1) | instid1(VALU_DEP_4)
	v_mad_co_u64_u32 v[41:42], null, s5, v106, v[28:29]
	v_mov_b32_e32 v28, v32
	v_lshlrev_b64_e32 v[26:27], 3, v[26:27]
	s_delay_alu instid0(VALU_DEP_2) | instskip(SKIP_2) | instid1(VALU_DEP_3)
	v_mad_co_u64_u32 v[42:43], null, s5, v105, v[28:29]
	v_mad_co_u64_u32 v[43:44], null, s4, v104, 0
	v_mov_b32_e32 v30, v41
	v_mov_b32_e32 v32, v42
	v_mad_co_u64_u32 v[41:42], null, s4, v103, 0
	s_delay_alu instid0(VALU_DEP_3) | instskip(SKIP_1) | instid1(VALU_DEP_4)
	v_lshlrev_b64_e32 v[28:29], 3, v[29:30]
	v_mov_b32_e32 v30, v44
	v_lshlrev_b64_e32 v[31:32], 3, v[31:32]
	s_delay_alu instid0(VALU_DEP_1)
	v_mad_co_u64_u32 v[47:48], null, s5, v104, v[30:31]
	v_mov_b32_e32 v30, v42
	v_lshlrev_b64_e32 v[10:11], 3, v[10:11]
	v_mov_b32_e32 v42, v46
	v_lshlrev_b64_e32 v[12:13], 3, v[12:13]
	v_mov_b32_e32 v44, v47
	s_delay_alu instid0(VALU_DEP_4)
	v_add_co_u32 v10, s2, v59, v10
	v_lshlrev_b64_e32 v[14:15], 3, v[14:15]
	s_wait_alu 0xf1ff
	v_add_co_ci_u32_e64 v11, s2, v69, v11, s2
	v_add_co_u32 v12, s2, v59, v12
	s_wait_alu 0xf1ff
	v_add_co_ci_u32_e64 v13, s2, v69, v13, s2
	v_add_co_u32 v14, s2, v59, v14
	;; [unrolled: 3-line block ×3, first 2 shown]
	s_wait_alu 0xf1ff
	v_add_co_ci_u32_e64 v17, s2, v69, v17, s2
	s_clause 0x3
	global_load_b64 v[10:11], v[10:11], off
	global_load_b64 v[12:13], v[12:13], off
	;; [unrolled: 1-line block ×4, first 2 shown]
	s_clause 0x3
	global_load_b64 v[33:34], v100, s[8:9] offset:1024
	global_load_b64 v[35:36], v100, s[8:9] offset:1280
	;; [unrolled: 1-line block ×4, first 2 shown]
	v_mad_co_u64_u32 v[51:52], null, s5, v102, v[42:43]
	v_lshlrev_b64_e32 v[43:44], 3, v[43:44]
	v_mul_f32_e32 v19, v7, v21
	s_wait_loadcnt 0x8
	v_mul_f32_e32 v21, v1, v23
	s_delay_alu instid0(VALU_DEP_4) | instskip(SKIP_2) | instid1(VALU_DEP_4)
	v_dual_mul_f32 v81, v0, v23 :: v_dual_mov_b32 v46, v51
	v_lshlrev_b64_e32 v[24:25], 3, v[24:25]
	v_mad_co_u64_u32 v[51:52], null, s4, v99, 0
	v_fmac_f32_e32 v21, v0, v22
	s_delay_alu instid0(VALU_DEP_4) | instskip(NEXT) | instid1(VALU_DEP_4)
	v_lshlrev_b64_e32 v[45:46], 3, v[45:46]
	v_add_co_u32 v24, s2, v59, v24
	s_wait_alu 0xf1ff
	v_add_co_ci_u32_e64 v25, s2, v69, v25, s2
	v_add_co_u32 v26, s2, v59, v26
	s_wait_alu 0xf1ff
	v_add_co_ci_u32_e64 v27, s2, v69, v27, s2
	;; [unrolled: 3-line block ×4, first 2 shown]
	v_add_co_u32 v43, s2, v59, v43
	s_delay_alu instid0(VALU_DEP_3)
	v_mad_co_u64_u32 v[48:49], null, s5, v103, v[30:31]
	s_clause 0x3
	global_load_b64 v[24:25], v[24:25], off
	global_load_b64 v[26:27], v[26:27], off
	;; [unrolled: 1-line block ×4, first 2 shown]
	s_wait_alu 0xf1ff
	v_add_co_ci_u32_e64 v44, s2, v69, v44, s2
	v_mov_b32_e32 v42, v48
	v_mad_co_u64_u32 v[47:48], null, s4, v101, 0
	s_delay_alu instid0(VALU_DEP_2) | instskip(NEXT) | instid1(VALU_DEP_2)
	v_lshlrev_b64_e32 v[41:42], 3, v[41:42]
	v_mov_b32_e32 v32, v48
	s_delay_alu instid0(VALU_DEP_2) | instskip(SKIP_1) | instid1(VALU_DEP_3)
	v_add_co_u32 v41, s2, v59, v41
	s_wait_alu 0xf1ff
	v_add_co_ci_u32_e64 v42, s2, v69, v42, s2
	v_add_co_u32 v45, s2, v59, v45
	s_wait_alu 0xf1ff
	v_add_co_ci_u32_e64 v46, s2, v69, v46, s2
	s_wait_loadcnt 0x7
	v_mad_co_u64_u32 v[48:49], null, s5, v101, v[32:33]
	v_lshl_add_u32 v49, v50, 3, v100
	v_mov_b32_e32 v32, v52
	s_wait_loadcnt 0x6
	v_dual_mul_f32 v82, v10, v34 :: v_dual_mul_f32 v83, v12, v36
	s_wait_loadcnt 0x5
	v_dual_mul_f32 v84, v14, v38 :: v_dual_add_nc_u32 v79, 0xc00, v49
	v_mad_co_u64_u32 v[52:53], null, s5, v99, v[32:33]
	v_lshlrev_b64_e32 v[47:48], 3, v[47:48]
	s_clause 0x3
	global_load_b64 v[53:54], v100, s[8:9] offset:2048
	global_load_b64 v[55:56], v100, s[8:9] offset:2304
	;; [unrolled: 1-line block ×4, first 2 shown]
	s_clause 0x1
	global_load_b64 v[43:44], v[43:44], off
	global_load_b64 v[41:42], v[41:42], off
	s_clause 0x2
	global_load_b64 v[63:64], v100, s[8:9] offset:3072
	global_load_b64 v[65:66], v100, s[8:9] offset:3328
	global_load_b64 v[67:68], v100, s[8:9] offset:3584
	v_add_nc_u32_e32 v78, 0x800, v49
	v_mul_f32_e32 v32, v13, v36
	s_wait_loadcnt 0xd
	v_mul_f32_e32 v36, v17, v40
	v_lshlrev_b64_e32 v[51:52], 3, v[51:52]
	v_add_co_u32 v47, s2, v59, v47
	s_wait_alu 0xf1ff
	v_add_co_ci_u32_e64 v48, s2, v69, v48, s2
	v_mul_f32_e32 v85, v16, v40
	s_delay_alu instid0(VALU_DEP_4)
	v_add_co_u32 v51, s2, v59, v51
	s_wait_alu 0xf1ff
	v_add_co_ci_u32_e64 v52, s2, v69, v52, s2
	s_clause 0x1
	global_load_b64 v[45:46], v[45:46], off
	global_load_b64 v[47:48], v[47:48], off
	s_clause 0x1
	global_load_b64 v[69:70], v100, s[8:9] offset:3840
	global_load_b64 v[71:72], v100, s[8:9] offset:4096
	global_load_b64 v[51:52], v[51:52], off
	v_mul_f32_e32 v59, v2, v9
	v_mul_f32_e32 v9, v11, v34
	v_dual_mul_f32 v34, v15, v38 :: v_dual_fmac_f32 v19, v6, v20
	v_fma_f32 v20, v7, v20, -v80
	s_delay_alu instid0(VALU_DEP_4)
	v_fma_f32 v74, v3, v8, -v59
	v_fma_f32 v22, v1, v22, -v81
	v_fmac_f32_e32 v32, v12, v35
	v_fmac_f32_e32 v34, v14, v37
	v_dual_fmac_f32 v36, v16, v39 :: v_dual_add_nc_u32 v77, 0x400, v49
	v_fmac_f32_e32 v9, v10, v33
	v_fma_f32 v10, v11, v33, -v82
	v_fma_f32 v33, v13, v35, -v83
	;; [unrolled: 1-line block ×3, first 2 shown]
	s_wait_loadcnt 0xc
	v_dual_mul_f32 v23, v25, v54 :: v_dual_mul_f32 v38, v27, v56
	v_dual_mul_f32 v86, v24, v54 :: v_dual_mul_f32 v87, v26, v56
	s_wait_loadcnt 0xb
	v_mul_f32_e32 v54, v29, v58
	v_mul_f32_e32 v88, v28, v58
	s_wait_loadcnt 0xa
	v_mul_f32_e32 v56, v31, v62
	s_wait_loadcnt 0x7
	v_dual_mul_f32 v89, v30, v62 :: v_dual_mul_f32 v58, v44, v64
	s_wait_loadcnt 0x6
	v_dual_mul_f32 v90, v43, v64 :: v_dual_mul_f32 v91, v41, v66
	v_dual_mul_f32 v40, v42, v66 :: v_dual_fmac_f32 v23, v24, v53
	v_fma_f32 v37, v17, v39, -v85
	v_fma_f32 v24, v25, v53, -v86
	v_fmac_f32_e32 v38, v26, v55
	s_wait_loadcnt 0x4
	v_mul_f32_e32 v62, v46, v68
	v_mul_f32_e32 v68, v45, v68
	s_wait_loadcnt 0x2
	v_mul_f32_e32 v64, v48, v70
	v_mul_f32_e32 v70, v47, v70
	s_wait_loadcnt 0x0
	v_mul_f32_e32 v66, v52, v72
	v_mul_f32_e32 v72, v51, v72
	v_fma_f32 v39, v27, v55, -v87
	v_fmac_f32_e32 v54, v28, v57
	v_fma_f32 v55, v29, v57, -v88
	v_fmac_f32_e32 v56, v30, v61
	;; [unrolled: 2-line block ×7, first 2 shown]
	v_fma_f32 v67, v52, v71, -v72
	ds_store_b64 v117, v[73:74]
	ds_store_2addr_b64 v49, v[75:76], v[19:20] offset0:32 offset1:64
	ds_store_2addr_b64 v49, v[21:22], v[9:10] offset0:96 offset1:128
	;; [unrolled: 1-line block ×8, first 2 shown]
.LBB0_3:
	s_or_b32 exec_lo, exec_lo, s3
	s_clause 0x1
	s_load_b64 s[4:5], s[0:1], 0x20
	s_load_b64 s[2:3], s[0:1], 0x8
	v_mov_b32_e32 v0, 0
	v_dual_mov_b32 v1, 0 :: v_dual_lshlrev_b32 v118, 3, v50
	global_wb scope:SCOPE_SE
	s_wait_dscnt 0x0
	s_wait_kmcnt 0x0
	s_barrier_signal -1
	s_barrier_wait -1
	global_inv scope:SCOPE_SE
                                        ; implicit-def: $vgpr4
                                        ; implicit-def: $vgpr10
                                        ; implicit-def: $vgpr14
                                        ; implicit-def: $vgpr18
                                        ; implicit-def: $vgpr30
                                        ; implicit-def: $vgpr26
                                        ; implicit-def: $vgpr34
                                        ; implicit-def: $vgpr22
	s_and_saveexec_b32 s0, vcc_lo
	s_cbranch_execz .LBB0_5
; %bb.4:
	v_lshl_add_u32 v2, v116, 3, v118
	ds_load_b64 v[0:1], v117
	ds_load_2addr_b64 v[20:23], v2 offset0:32 offset1:64
	v_add_nc_u32_e32 v3, 0x400, v2
	v_add_nc_u32_e32 v4, 0x800, v2
	ds_load_2addr_b64 v[32:35], v2 offset0:96 offset1:128
	ds_load_2addr_b64 v[24:27], v2 offset0:160 offset1:192
	v_add_nc_u32_e32 v2, 0xc00, v2
	ds_load_2addr_b64 v[28:31], v3 offset0:96 offset1:128
	ds_load_2addr_b64 v[16:19], v4 offset0:32 offset1:64
	;; [unrolled: 1-line block ×5, first 2 shown]
.LBB0_5:
	s_wait_alu 0xfffe
	s_or_b32 exec_lo, exec_lo, s0
	s_wait_dscnt 0x0
	v_dual_sub_f32 v84, v21, v7 :: v_dual_sub_f32 v89, v20, v6
	v_add_f32_e32 v51, v6, v20
	v_dual_add_f32 v55, v7, v21 :: v_dual_add_f32 v52, v4, v22
	s_delay_alu instid0(VALU_DEP_3) | instskip(NEXT) | instid1(VALU_DEP_4)
	v_dual_mul_f32 v73, 0xbeb8f4ab, v84 :: v_dual_sub_f32 v86, v33, v11
	v_dual_mul_f32 v78, 0xbeb8f4ab, v89 :: v_dual_sub_f32 v91, v22, v4
	v_dual_add_f32 v56, v11, v33 :: v_dual_add_f32 v57, v8, v34
	s_delay_alu instid0(VALU_DEP_3) | instskip(SKIP_1) | instid1(VALU_DEP_4)
	v_fmamk_f32 v2, v51, 0x3f6eb680, v73
	v_sub_f32_e32 v85, v23, v5
	v_fma_f32 v3, 0x3f6eb680, v55, -v78
	v_dual_mul_f32 v71, 0xbf2c7751, v91 :: v_dual_add_f32 v54, v10, v32
	s_delay_alu instid0(VALU_DEP_3) | instskip(SKIP_1) | instid1(VALU_DEP_4)
	v_dual_add_f32 v2, v2, v0 :: v_dual_mul_f32 v69, 0xbf2c7751, v85
	v_dual_sub_f32 v88, v32, v10 :: v_dual_add_f32 v53, v5, v23
	v_dual_add_f32 v3, v3, v1 :: v_dual_mul_f32 v68, 0xbf65296c, v86
	s_delay_alu instid0(VALU_DEP_3) | instskip(NEXT) | instid1(VALU_DEP_3)
	v_fmamk_f32 v36, v52, 0x3f3d2fb0, v69
	v_dual_mul_f32 v70, 0xbf65296c, v88 :: v_dual_sub_f32 v87, v35, v9
	s_delay_alu instid0(VALU_DEP_4) | instskip(SKIP_1) | instid1(VALU_DEP_4)
	v_fma_f32 v37, 0x3f3d2fb0, v53, -v71
	v_dual_sub_f32 v90, v25, v15 :: v_dual_sub_f32 v97, v26, v12
	v_add_f32_e32 v2, v36, v2
	s_delay_alu instid0(VALU_DEP_3) | instskip(NEXT) | instid1(VALU_DEP_3)
	v_dual_sub_f32 v92, v34, v8 :: v_dual_add_f32 v3, v37, v3
	v_mul_f32_e32 v75, 0xbf763a35, v90
	v_fma_f32 v37, 0x3ee437d1, v56, -v70
	v_fmamk_f32 v36, v54, 0x3ee437d1, v68
	v_dual_add_f32 v58, v9, v35 :: v_dual_add_f32 v59, v14, v24
	v_dual_mul_f32 v72, 0xbf7ee86f, v87 :: v_dual_add_f32 v61, v15, v25
	s_delay_alu instid0(VALU_DEP_4) | instskip(NEXT) | instid1(VALU_DEP_4)
	v_dual_add_f32 v3, v37, v3 :: v_dual_mul_f32 v74, 0xbf7ee86f, v92
	v_dual_add_f32 v2, v36, v2 :: v_dual_sub_f32 v93, v27, v13
	v_sub_f32_e32 v94, v24, v14
	s_delay_alu instid0(VALU_DEP_4) | instskip(NEXT) | instid1(VALU_DEP_4)
	v_dual_fmamk_f32 v36, v57, 0x3dbcf732, v72 :: v_dual_add_f32 v63, v18, v28
	v_fma_f32 v37, 0x3dbcf732, v58, -v74
	s_delay_alu instid0(VALU_DEP_4) | instskip(NEXT) | instid1(VALU_DEP_3)
	v_dual_mul_f32 v77, 0xbf4c4adb, v93 :: v_dual_add_f32 v62, v12, v26
	v_dual_add_f32 v65, v19, v29 :: v_dual_add_f32 v2, v36, v2
	v_mul_f32_e32 v79, 0xbf4c4adb, v97
	s_delay_alu instid0(VALU_DEP_4) | instskip(SKIP_2) | instid1(VALU_DEP_3)
	v_dual_add_f32 v3, v37, v3 :: v_dual_mul_f32 v76, 0xbf763a35, v94
	v_dual_fmamk_f32 v36, v59, 0xbe8c1d8e, v75 :: v_dual_sub_f32 v95, v29, v19
	v_dual_sub_f32 v98, v28, v18 :: v_dual_sub_f32 v119, v30, v16
	v_fma_f32 v37, 0xbe8c1d8e, v61, -v76
	v_add_f32_e32 v64, v13, v27
	s_delay_alu instid0(VALU_DEP_3) | instskip(SKIP_1) | instid1(VALU_DEP_4)
	v_dual_mul_f32 v80, 0xbf06c442, v95 :: v_dual_mul_f32 v81, 0xbf06c442, v98
	v_add_f32_e32 v67, v17, v31
	v_add_f32_e32 v3, v37, v3
	s_delay_alu instid0(VALU_DEP_4) | instskip(SKIP_3) | instid1(VALU_DEP_4)
	v_fma_f32 v37, 0xbf1a4643, v64, -v79
	v_add_f32_e32 v2, v36, v2
	v_fmamk_f32 v36, v62, 0xbf1a4643, v77
	v_dual_mul_f32 v83, 0xbe3c28d5, v119 :: v_dual_add_f32 v66, v16, v30
	v_add_f32_e32 v3, v37, v3
	v_fma_f32 v37, 0xbf59a7d5, v65, -v81
	s_delay_alu instid0(VALU_DEP_4)
	v_add_f32_e32 v2, v36, v2
	v_fmamk_f32 v36, v63, 0xbf59a7d5, v80
	global_wb scope:SCOPE_SE
	s_barrier_signal -1
	v_add_f32_e32 v3, v37, v3
	v_fma_f32 v37, 0xbf7ba420, v67, -v83
	v_sub_f32_e32 v96, v31, v17
	v_add_f32_e32 v2, v36, v2
	s_barrier_wait -1
	global_inv scope:SCOPE_SE
	v_dual_add_f32 v3, v37, v3 :: v_dual_mul_f32 v82, 0xbe3c28d5, v96
	s_delay_alu instid0(VALU_DEP_1) | instskip(NEXT) | instid1(VALU_DEP_1)
	v_fmamk_f32 v36, v66, 0xbf7ba420, v82
	v_add_f32_e32 v2, v36, v2
	s_and_saveexec_b32 s0, vcc_lo
	s_cbranch_execz .LBB0_7
; %bb.6:
	v_mul_f32_e32 v135, 0xbf65296c, v84
	v_mul_f32_e32 v134, 0x3ee437d1, v55
	;; [unrolled: 1-line block ×6, first 2 shown]
	v_fmamk_f32 v36, v89, 0x3f65296c, v134
	v_mul_f32_e32 v125, 0xbe8c1d8e, v58
	v_mul_f32_e32 v171, 0xbf59a7d5, v58
	v_fmamk_f32 v41, v59, 0x3f3d2fb0, v130
	v_fmamk_f32 v38, v88, 0xbe3c28d5, v126
	v_add_f32_e32 v36, v36, v1
	v_mul_f32_e32 v127, 0xbf1a4643, v53
	v_fmamk_f32 v39, v92, 0xbf763a35, v125
	v_mul_f32_e32 v160, 0x3f06c442, v85
	v_mul_f32_e32 v151, 0x3eb8f4ab, v87
	v_mul_f32_e32 v140, 0x3f6eb680, v58
	v_fmamk_f32 v37, v91, 0x3f4c4adb, v127
	v_mul_f32_e32 v128, 0xbeb8f4ab, v93
	v_fmamk_f32 v43, v52, 0xbf59a7d5, v160
	v_mul_f32_e32 v148, 0xbe3c28d5, v85
	v_mul_f32_e32 v144, 0xbf7ba420, v53
	v_dual_add_f32 v36, v37, v36 :: v_dual_fmamk_f32 v37, v51, 0x3ee437d1, v135
	v_mul_f32_e32 v124, 0x3f3d2fb0, v61
	v_dual_mul_f32 v146, 0xbf65296c, v90 :: v_dual_mul_f32 v163, 0xbf65296c, v87
	s_delay_alu instid0(VALU_DEP_3) | instskip(NEXT) | instid1(VALU_DEP_3)
	v_dual_add_f32 v36, v38, v36 :: v_dual_mul_f32 v133, 0xbf4c4adb, v85
	v_dual_add_f32 v37, v37, v0 :: v_dual_fmamk_f32 v40, v94, 0xbf2c7751, v124
	s_delay_alu instid0(VALU_DEP_2) | instskip(NEXT) | instid1(VALU_DEP_3)
	v_dual_mul_f32 v141, 0xbf1a4643, v65 :: v_dual_add_f32 v36, v39, v36
	v_fmamk_f32 v38, v52, 0xbf1a4643, v133
	v_mul_f32_e32 v131, 0x3f763a35, v87
	v_fmamk_f32 v39, v54, 0xbf7ba420, v132
	v_mul_f32_e32 v139, 0xbe8c1d8e, v56
	s_delay_alu instid0(VALU_DEP_4)
	v_dual_add_f32 v36, v40, v36 :: v_dual_add_f32 v37, v38, v37
	v_mul_f32_e32 v120, 0xbf59a7d5, v67
	v_fmamk_f32 v40, v57, 0xbe8c1d8e, v131
	v_mul_f32_e32 v153, 0xbf59a7d5, v53
	v_dual_mul_f32 v150, 0xbf06c442, v93 :: v_dual_mul_f32 v177, 0xbf06c442, v87
	v_add_f32_e32 v37, v39, v37
	v_mul_f32_e32 v137, 0x3f2c7751, v96
	s_delay_alu instid0(VALU_DEP_4) | instskip(SKIP_1) | instid1(VALU_DEP_4)
	v_fmamk_f32 v42, v91, 0xbf06c442, v153
	v_mul_f32_e32 v164, 0xbf1a4643, v55
	v_dual_mul_f32 v138, 0x3f4c4adb, v95 :: v_dual_add_f32 v37, v40, v37
	v_fmamk_f32 v40, v89, 0x3f7ee86f, v142
	v_mul_f32_e32 v123, 0x3f6eb680, v64
	v_fmamk_f32 v44, v66, 0x3f3d2fb0, v137
	v_mul_f32_e32 v161, 0x3f2c7751, v86
	v_add_f32_e32 v41, v41, v37
	v_add_f32_e32 v40, v40, v1
	v_fmamk_f32 v38, v97, 0x3eb8f4ab, v123
	v_mul_f32_e32 v136, 0x3f3d2fb0, v67
	v_dual_mul_f32 v166, 0xbe3c28d5, v90 :: v_dual_mul_f32 v181, 0xbe3c28d5, v95
	s_delay_alu instid0(VALU_DEP_3)
	v_dual_mul_f32 v179, 0x3f7ee86f, v90 :: v_dual_add_f32 v36, v38, v36
	v_fmamk_f32 v38, v119, 0x3f06c442, v120
	v_mul_f32_e32 v122, 0x3dbcf732, v65
	v_mul_f32_e32 v158, 0x3dbcf732, v64
	v_dual_mul_f32 v156, 0x3f6eb680, v65 :: v_dual_mul_f32 v169, 0x3f6eb680, v56
	v_mul_f32_e32 v165, 0xbe8c1d8e, v53
	s_delay_alu instid0(VALU_DEP_4) | instskip(SKIP_3) | instid1(VALU_DEP_4)
	v_fmamk_f32 v39, v98, 0x3f7ee86f, v122
	v_mul_f32_e32 v129, 0xbf7ee86f, v95
	v_mul_f32_e32 v172, 0xbf4c4adb, v96
	v_dual_mul_f32 v168, 0xbeb8f4ab, v95 :: v_dual_mul_f32 v175, 0xbeb8f4ab, v86
	v_dual_add_f32 v36, v39, v36 :: v_dual_fmamk_f32 v39, v62, 0x3f6eb680, v128
	v_mul_f32_e32 v159, 0xbf763a35, v84
	v_mul_f32_e32 v152, 0xbe8c1d8e, v55
	v_mul_f32_e32 v149, 0x3f763a35, v86
	s_delay_alu instid0(VALU_DEP_4)
	v_dual_add_f32 v37, v38, v36 :: v_dual_fmamk_f32 v36, v91, 0x3e3c28d5, v144
	v_add_f32_e32 v38, v39, v41
	v_fmamk_f32 v39, v63, 0x3dbcf732, v129
	v_mul_f32_e32 v121, 0xbf06c442, v96
	v_fmamk_f32 v41, v92, 0xbeb8f4ab, v140
	v_add_f32_e32 v36, v36, v40
	v_fmamk_f32 v40, v88, 0xbf763a35, v139
	s_delay_alu instid0(VALU_DEP_4) | instskip(SKIP_2) | instid1(VALU_DEP_4)
	v_dual_add_f32 v38, v39, v38 :: v_dual_fmamk_f32 v39, v66, 0xbf59a7d5, v121
	v_mul_f32_e32 v147, 0xbf7ee86f, v84
	v_fmamk_f32 v46, v66, 0xbf1a4643, v172
	v_dual_add_f32 v40, v40, v36 :: v_dual_fmamk_f32 v45, v91, 0xbf763a35, v165
	s_delay_alu instid0(VALU_DEP_4) | instskip(NEXT) | instid1(VALU_DEP_4)
	v_add_f32_e32 v36, v39, v38
	v_fmamk_f32 v38, v51, 0x3dbcf732, v147
	v_mul_f32_e32 v143, 0x3ee437d1, v61
	s_delay_alu instid0(VALU_DEP_4)
	v_add_f32_e32 v39, v41, v40
	v_fmamk_f32 v41, v52, 0xbf7ba420, v148
	v_dual_mul_f32 v162, 0xbf1a4643, v67 :: v_dual_mul_f32 v185, 0xbf1a4643, v58
	v_add_f32_e32 v38, v38, v0
	v_mul_f32_e32 v170, 0xbf4c4adb, v84
	v_mul_f32_e32 v176, 0x3f3d2fb0, v64
	;; [unrolled: 1-line block ×4, first 2 shown]
	v_dual_add_f32 v38, v41, v38 :: v_dual_fmamk_f32 v41, v54, 0xbe8c1d8e, v149
	v_mul_f32_e32 v192, 0x3f3d2fb0, v65
	v_mul_f32_e32 v180, 0xbf2c7751, v93
	s_delay_alu instid0(VALU_DEP_4) | instskip(NEXT) | instid1(VALU_DEP_4)
	v_fmamk_f32 v210, v66, 0xbe8c1d8e, v202
	v_dual_fmamk_f32 v199, v119, 0x3f763a35, v197 :: v_dual_add_f32 v38, v41, v38
	v_fmamk_f32 v41, v57, 0x3f6eb680, v151
	v_mul_f32_e32 v145, 0xbf59a7d5, v64
	v_mul_f32_e32 v178, 0xbf7ba420, v65
	v_dual_mul_f32 v182, 0x3ee437d1, v67 :: v_dual_mul_f32 v49, 0x3ee437d1, v53
	s_delay_alu instid0(VALU_DEP_4) | instskip(NEXT) | instid1(VALU_DEP_3)
	v_dual_add_f32 v38, v41, v38 :: v_dual_fmamk_f32 v41, v59, 0x3ee437d1, v146
	v_fmamk_f32 v47, v98, 0x3e3c28d5, v178
	v_fmamk_f32 v195, v98, 0xbf2c7751, v192
	v_mul_f32_e32 v191, 0x3f4c4adb, v87
	v_mul_f32_e32 v204, 0x3eb8f4ab, v85
	v_dual_add_f32 v38, v41, v38 :: v_dual_fmamk_f32 v41, v62, 0xbf59a7d5, v150
	v_dual_mul_f32 v48, 0xbf59a7d5, v55 :: v_dual_mul_f32 v201, 0xbf59a7d5, v56
	v_dual_mul_f32 v184, 0xbf06c442, v84 :: v_dual_mul_f32 v207, 0xbf06c442, v86
	s_delay_alu instid0(VALU_DEP_3) | instskip(SKIP_3) | instid1(VALU_DEP_4)
	v_dual_add_f32 v38, v41, v38 :: v_dual_fmamk_f32 v41, v63, 0xbf1a4643, v138
	v_fmamk_f32 v206, v52, 0x3f6eb680, v204
	v_dual_mul_f32 v186, 0x3f65296c, v96 :: v_dual_mul_f32 v187, 0x3f65296c, v85
	v_mul_f32_e32 v193, 0xbeb8f4ab, v90
	v_dual_add_f32 v38, v41, v38 :: v_dual_fmamk_f32 v41, v51, 0xbe8c1d8e, v159
	v_mul_f32_e32 v188, 0x3f6eb680, v61
	v_mul_f32_e32 v198, 0x3f6eb680, v53
	;; [unrolled: 1-line block ×3, first 2 shown]
	s_delay_alu instid0(VALU_DEP_4) | instskip(SKIP_1) | instid1(VALU_DEP_4)
	v_dual_add_f32 v38, v44, v38 :: v_dual_add_f32 v41, v41, v0
	v_fmamk_f32 v44, v119, 0x3f4c4adb, v162
	v_fmamk_f32 v200, v91, 0xbeb8f4ab, v198
	;; [unrolled: 1-line block ×3, first 2 shown]
	v_mul_f32_e32 v196, 0xbe3c28d5, v93
	v_add_f32_e32 v41, v43, v41
	v_fmamk_f32 v43, v54, 0x3f3d2fb0, v161
	v_fmamk_f32 v40, v94, 0x3f65296c, v143
	v_fma_f32 v135, 0x3ee437d1, v51, -v135
	v_fma_f32 v133, 0xbf1a4643, v52, -v133
	;; [unrolled: 1-line block ×3, first 2 shown]
	v_add_f32_e32 v41, v43, v41
	v_add_f32_e32 v39, v40, v39
	v_fmamk_f32 v43, v57, 0x3ee437d1, v163
	v_fmamk_f32 v40, v97, 0x3f06c442, v145
	v_fma_f32 v131, 0xbe8c1d8e, v57, -v131
	v_dual_fmac_f32 v124, 0x3f2c7751, v94 :: v_dual_add_f32 v21, v21, v1
	s_delay_alu instid0(VALU_DEP_4) | instskip(NEXT) | instid1(VALU_DEP_4)
	v_add_f32_e32 v41, v43, v41
	v_add_f32_e32 v39, v40, v39
	v_fmamk_f32 v43, v59, 0xbf7ba420, v166
	v_fmamk_f32 v40, v98, 0xbf4c4adb, v141
	v_mul_f32_e32 v208, 0x3ee437d1, v64
	v_fma_f32 v130, 0x3f3d2fb0, v59, -v130
	v_fma_f32 v128, 0x3f6eb680, v62, -v128
	v_add_f32_e32 v41, v43, v41
	v_dual_add_f32 v39, v40, v39 :: v_dual_fmamk_f32 v40, v119, 0xbf2c7751, v136
	v_fmamk_f32 v43, v89, 0x3f4c4adb, v164
	v_mul_f32_e32 v154, 0x3f3d2fb0, v56
	v_fmamk_f32 v211, v97, 0xbf65296c, v208
	v_fma_f32 v129, 0x3dbcf732, v63, -v129
	v_dual_add_f32 v39, v40, v39 :: v_dual_fmamk_f32 v40, v89, 0x3f763a35, v152
	v_add_f32_e32 v43, v43, v1
	v_mul_f32_e32 v167, 0x3f7ee86f, v93
	v_mul_f32_e32 v212, 0xbf4c4adb, v90
	v_fmac_f32_e32 v134, 0xbf65296c, v89
	v_add_f32_e32 v40, v40, v1
	v_fma_f32 v159, 0xbe8c1d8e, v51, -v159
	v_mul_f32_e32 v189, 0xbf7ee86f, v86
	v_mul_f32_e32 v174, 0x3dbcf732, v61
	v_add_f32_e32 v134, v134, v1
	v_add_f32_e32 v40, v42, v40
	v_fmamk_f32 v42, v88, 0xbf2c7751, v154
	v_fmac_f32_e32 v123, 0xbeb8f4ab, v97
	v_fmac_f32_e32 v144, 0xbe3c28d5, v91
	v_fmac_f32_e32 v140, 0x3eb8f4ab, v92
	v_fmac_f32_e32 v126, 0x3e3c28d5, v88
	v_dual_add_f32 v40, v42, v40 :: v_dual_mul_f32 v155, 0x3ee437d1, v58
	v_mul_f32_e32 v183, 0x3dbcf732, v56
	v_fmac_f32_e32 v122, 0xbf7ee86f, v98
	v_add_f32_e32 v20, v20, v0
	v_fma_f32 v146, 0x3ee437d1, v59, -v146
	v_fmamk_f32 v42, v92, 0x3f65296c, v155
	v_fma_f32 v150, 0xbf59a7d5, v62, -v150
	v_fma_f32 v121, 0xbf59a7d5, v66, -v121
	v_add_f32_e32 v20, v22, v20
	v_fma_f32 v138, 0xbf1a4643, v63, -v138
	v_dual_add_f32 v40, v42, v40 :: v_dual_mul_f32 v157, 0xbf7ba420, v61
	v_add_f32_e32 v135, v135, v0
	v_fmac_f32_e32 v154, 0x3f2c7751, v88
	v_add_f32_e32 v20, v32, v20
	v_fmac_f32_e32 v139, 0x3f763a35, v88
	s_delay_alu instid0(VALU_DEP_4) | instskip(SKIP_1) | instid1(VALU_DEP_4)
	v_dual_fmamk_f32 v42, v94, 0x3e3c28d5, v157 :: v_dual_add_f32 v133, v133, v135
	v_fmac_f32_e32 v127, 0xbf4c4adb, v91
	v_dual_add_f32 v21, v23, v21 :: v_dual_add_f32 v20, v34, v20
	s_delay_alu instid0(VALU_DEP_3) | instskip(SKIP_4) | instid1(VALU_DEP_4)
	v_add_f32_e32 v40, v42, v40
	v_fmamk_f32 v42, v97, 0xbf7ee86f, v158
	v_add_f32_e32 v132, v132, v133
	v_fmac_f32_e32 v142, 0xbf7ee86f, v89
	v_dual_add_f32 v20, v24, v20 :: v_dual_fmac_f32 v141, 0x3f4c4adb, v98
	v_add_f32_e32 v40, v42, v40
	v_fmamk_f32 v42, v98, 0x3eb8f4ab, v156
	v_dual_fmac_f32 v156, 0xbeb8f4ab, v98 :: v_dual_add_f32 v131, v131, v132
	v_add_f32_e32 v142, v142, v1
	s_delay_alu instid0(VALU_DEP_3) | instskip(SKIP_1) | instid1(VALU_DEP_4)
	v_dual_add_f32 v21, v33, v21 :: v_dual_add_f32 v40, v42, v40
	v_fmamk_f32 v42, v62, 0x3dbcf732, v167
	v_add_f32_e32 v130, v130, v131
	s_delay_alu instid0(VALU_DEP_4) | instskip(SKIP_3) | instid1(VALU_DEP_3)
	v_add_f32_e32 v142, v144, v142
	v_fma_f32 v144, 0x3dbcf732, v51, -v147
	v_fmac_f32_e32 v157, 0xbe3c28d5, v94
	v_dual_add_f32 v41, v42, v41 :: v_dual_fmamk_f32 v42, v63, 0x3f6eb680, v168
	v_dual_add_f32 v139, v139, v142 :: v_dual_add_f32 v144, v144, v0
	v_add_f32_e32 v128, v128, v130
	v_mul_f32_e32 v130, 0xbf2c7751, v84
	s_delay_alu instid0(VALU_DEP_4)
	v_dual_add_f32 v42, v42, v41 :: v_dual_add_f32 v41, v44, v40
	v_dual_add_f32 v40, v45, v43 :: v_dual_fmamk_f32 v43, v88, 0x3eb8f4ab, v169
	v_fmamk_f32 v44, v51, 0xbf1a4643, v170
	v_fmac_f32_e32 v169, 0xbeb8f4ab, v88
	v_fma_f32 v147, 0xbf7ba420, v52, -v148
	v_add_f32_e32 v128, v129, v128
	v_dual_add_f32 v40, v43, v40 :: v_dual_fmamk_f32 v43, v92, 0x3f06c442, v171
	v_dual_add_f32 v44, v44, v0 :: v_dual_mul_f32 v173, 0x3f763a35, v85
	s_delay_alu instid0(VALU_DEP_4) | instskip(NEXT) | instid1(VALU_DEP_3)
	v_dual_fmac_f32 v165, 0x3f763a35, v91 :: v_dual_add_f32 v144, v147, v144
	v_dual_add_f32 v40, v43, v40 :: v_dual_fmamk_f32 v43, v94, 0xbf7ee86f, v174
	s_delay_alu instid0(VALU_DEP_3)
	v_fmamk_f32 v45, v52, 0xbe8c1d8e, v173
	v_fma_f32 v147, 0xbe8c1d8e, v54, -v149
	v_mul_f32_e32 v149, 0x3f3d2fb0, v53
	v_fmac_f32_e32 v171, 0xbf06c442, v92
	v_add_f32_e32 v40, v43, v40
	v_dual_add_f32 v44, v45, v44 :: v_dual_fmamk_f32 v45, v54, 0x3f6eb680, v175
	v_fmamk_f32 v43, v97, 0x3f2c7751, v176
	v_fma_f32 v173, 0xbe8c1d8e, v52, -v173
	v_fma_f32 v129, 0x3f3d2fb0, v51, -v130
	v_fmac_f32_e32 v162, 0xbf4c4adb, v119
	v_add_f32_e32 v44, v45, v44
	v_add_f32_e32 v43, v43, v40
	v_dual_fmamk_f32 v45, v57, 0xbf59a7d5, v177 :: v_dual_add_f32 v40, v46, v42
	v_fmamk_f32 v46, v119, 0xbf65296c, v182
	v_fmac_f32_e32 v182, 0x3f65296c, v119
	s_delay_alu instid0(VALU_DEP_4) | instskip(NEXT) | instid1(VALU_DEP_4)
	v_add_f32_e32 v42, v47, v43
	v_dual_add_f32 v44, v45, v44 :: v_dual_fmamk_f32 v45, v59, 0x3dbcf732, v179
	v_fmamk_f32 v47, v91, 0xbf65296c, v49
	v_fmac_f32_e32 v49, 0x3f65296c, v91
	v_fma_f32 v160, 0xbf59a7d5, v52, -v160
	v_dual_fmac_f32 v136, 0x3f2c7751, v119 :: v_dual_add_f32 v71, v71, v149
	v_dual_add_f32 v43, v45, v44 :: v_dual_fmamk_f32 v44, v62, 0x3f3d2fb0, v180
	v_fmac_f32_e32 v145, 0xbf06c442, v97
	v_fmac_f32_e32 v130, 0x3f3d2fb0, v51
	v_add_f32_e32 v139, v140, v139
	v_add_f32_e32 v21, v35, v21
	v_dual_add_f32 v43, v44, v43 :: v_dual_fmamk_f32 v44, v63, 0xbf7ba420, v181
	v_add_f32_e32 v159, v159, v0
	v_fmac_f32_e32 v153, 0x3f06c442, v91
	v_fmac_f32_e32 v155, 0xbf65296c, v92
	s_delay_alu instid0(VALU_DEP_4)
	v_dual_fmac_f32 v143, 0xbf65296c, v94 :: v_dual_add_f32 v44, v44, v43
	v_dual_add_f32 v43, v46, v42 :: v_dual_fmamk_f32 v46, v51, 0xbf59a7d5, v184
	v_fmamk_f32 v45, v89, 0x3f06c442, v48
	v_fma_f32 v184, 0xbf59a7d5, v51, -v184
	v_fmac_f32_e32 v164, 0xbf4c4adb, v89
	v_fmac_f32_e32 v48, 0xbf06c442, v89
	s_delay_alu instid0(VALU_DEP_4) | instskip(NEXT) | instid1(VALU_DEP_4)
	v_dual_add_f32 v46, v46, v0 :: v_dual_add_f32 v45, v45, v1
	v_add_f32_e32 v184, v184, v0
	s_delay_alu instid0(VALU_DEP_4) | instskip(NEXT) | instid1(VALU_DEP_4)
	v_add_f32_e32 v164, v164, v1
	v_add_f32_e32 v48, v48, v1
	s_delay_alu instid0(VALU_DEP_4)
	v_dual_add_f32 v159, v160, v159 :: v_dual_add_f32 v42, v47, v45
	v_fmamk_f32 v47, v52, 0x3ee437d1, v187
	v_fmamk_f32 v45, v88, 0x3f7ee86f, v183
	v_fma_f32 v187, 0x3ee437d1, v52, -v187
	v_fmac_f32_e32 v183, 0xbf7ee86f, v88
	v_add_f32_e32 v164, v165, v164
	v_dual_add_f32 v46, v47, v46 :: v_dual_fmamk_f32 v47, v54, 0x3dbcf732, v189
	v_dual_add_f32 v42, v45, v42 :: v_dual_fmamk_f32 v45, v92, 0xbf4c4adb, v185
	v_add_f32_e32 v184, v187, v184
	v_fma_f32 v187, 0x3dbcf732, v54, -v189
	s_delay_alu instid0(VALU_DEP_4) | instskip(NEXT) | instid1(VALU_DEP_4)
	v_dual_add_f32 v46, v47, v46 :: v_dual_fmamk_f32 v47, v57, 0xbf1a4643, v191
	v_add_f32_e32 v42, v45, v42
	v_fma_f32 v170, 0xbf1a4643, v51, -v170
	v_add_f32_e32 v164, v169, v164
	v_fmac_f32_e32 v174, 0x3f7ee86f, v94
	v_add_f32_e32 v46, v47, v46
	v_fmamk_f32 v47, v59, 0x3f6eb680, v193
	v_fmamk_f32 v45, v94, 0x3eb8f4ab, v188
	v_fmac_f32_e32 v188, 0xbeb8f4ab, v94
	v_dual_add_f32 v170, v170, v0 :: v_dual_add_f32 v139, v143, v139
	s_delay_alu instid0(VALU_DEP_3) | instskip(SKIP_1) | instid1(VALU_DEP_3)
	v_dual_add_f32 v171, v171, v164 :: v_dual_add_f32 v42, v45, v42
	v_fmamk_f32 v45, v97, 0x3e3c28d5, v190
	v_add_f32_e32 v169, v173, v170
	v_fma_f32 v170, 0x3f6eb680, v54, -v175
	s_delay_alu instid0(VALU_DEP_4) | instskip(SKIP_2) | instid1(VALU_DEP_4)
	v_add_f32_e32 v171, v174, v171
	v_fma_f32 v160, 0x3f3d2fb0, v54, -v161
	v_dual_add_f32 v45, v45, v42 :: v_dual_add_f32 v42, v194, v44
	v_add_f32_e32 v169, v170, v169
	v_fma_f32 v170, 0xbf59a7d5, v57, -v177
	s_delay_alu instid0(VALU_DEP_3) | instskip(SKIP_2) | instid1(VALU_DEP_4)
	v_dual_add_f32 v139, v145, v139 :: v_dual_add_f32 v44, v195, v45
	v_dual_add_f32 v45, v47, v46 :: v_dual_fmamk_f32 v46, v62, 0xbf7ba420, v196
	v_mul_f32_e32 v195, 0x3f2c7751, v95
	v_add_f32_e32 v169, v170, v169
	s_delay_alu instid0(VALU_DEP_4) | instskip(NEXT) | instid1(VALU_DEP_3)
	v_dual_fmac_f32 v152, 0xbf763a35, v89 :: v_dual_add_f32 v139, v141, v139
	v_dual_add_f32 v45, v46, v45 :: v_dual_fmamk_f32 v46, v63, 0x3f3d2fb0, v195
	v_fma_f32 v170, 0x3dbcf732, v59, -v179
	s_delay_alu instid0(VALU_DEP_3) | instskip(SKIP_1) | instid1(VALU_DEP_4)
	v_dual_add_f32 v152, v152, v1 :: v_dual_mul_f32 v143, 0x3ee437d1, v54
	v_mul_f32_e32 v86, 0xbf4c4adb, v86
	v_dual_add_f32 v46, v46, v45 :: v_dual_add_f32 v45, v199, v44
	v_dual_fmac_f32 v178, 0xbe3c28d5, v98 :: v_dual_mul_f32 v199, 0xbe3c28d5, v84
	v_add_f32_e32 v184, v187, v184
	v_fma_f32 v187, 0xbf1a4643, v57, -v191
	v_dual_add_f32 v48, v49, v48 :: v_dual_fmac_f32 v197, 0xbf763a35, v119
	s_delay_alu instid0(VALU_DEP_4)
	v_fmamk_f32 v203, v51, 0xbf7ba420, v199
	v_fma_f32 v199, 0xbf7ba420, v51, -v199
	v_mul_f32_e32 v194, 0xbf7ba420, v55
	v_add_f32_e32 v184, v187, v184
	v_fma_f32 v187, 0x3f6eb680, v59, -v193
	v_add_f32_e32 v203, v203, v0
	s_delay_alu instid0(VALU_DEP_4) | instskip(SKIP_2) | instid1(VALU_DEP_4)
	v_dual_add_f32 v48, v183, v48 :: v_dual_fmamk_f32 v47, v89, 0x3e3c28d5, v194
	v_fmac_f32_e32 v194, 0xbe3c28d5, v89
	v_fmac_f32_e32 v198, 0x3eb8f4ab, v91
	v_add_f32_e32 v203, v206, v203
	s_delay_alu instid0(VALU_DEP_4) | instskip(NEXT) | instid1(VALU_DEP_4)
	v_dual_fmamk_f32 v206, v54, 0xbf59a7d5, v207 :: v_dual_add_f32 v47, v47, v1
	v_dual_add_f32 v194, v194, v1 :: v_dual_mul_f32 v209, 0x3f2c7751, v87
	s_delay_alu instid0(VALU_DEP_2) | instskip(NEXT) | instid1(VALU_DEP_3)
	v_dual_fmac_f32 v190, 0xbe3c28d5, v97 :: v_dual_add_f32 v203, v206, v203
	v_add_f32_e32 v44, v200, v47
	v_fmamk_f32 v47, v88, 0x3f06c442, v201
	v_mul_f32_e32 v200, 0x3f3d2fb0, v58
	v_dual_add_f32 v194, v198, v194 :: v_dual_mul_f32 v87, 0xbe3c28d5, v87
	v_dual_fmac_f32 v176, 0xbf2c7751, v97 :: v_dual_add_f32 v127, v127, v134
	s_delay_alu instid0(VALU_DEP_3) | instskip(SKIP_3) | instid1(VALU_DEP_4)
	v_dual_add_f32 v44, v47, v44 :: v_dual_fmamk_f32 v47, v92, 0xbf2c7751, v200
	v_mul_f32_e32 v205, 0xbf1a4643, v61
	v_fmac_f32_e32 v200, 0x3f2c7751, v92
	v_fmac_f32_e32 v201, 0xbf06c442, v88
	v_dual_add_f32 v171, v176, v171 :: v_dual_add_f32 v44, v47, v44
	s_delay_alu instid0(VALU_DEP_4) | instskip(NEXT) | instid1(VALU_DEP_3)
	v_fmamk_f32 v47, v94, 0x3f4c4adb, v205
	v_dual_add_f32 v169, v170, v169 :: v_dual_add_f32 v194, v201, v194
	v_dual_add_f32 v126, v126, v127 :: v_dual_mul_f32 v89, 0xbf2c7751, v89
	s_delay_alu instid0(VALU_DEP_3) | instskip(SKIP_1) | instid1(VALU_DEP_4)
	v_dual_add_f32 v47, v47, v44 :: v_dual_add_f32 v44, v210, v46
	v_mul_f32_e32 v210, 0xbe8c1d8e, v65
	v_add_f32_e32 v194, v200, v194
	v_fmac_f32_e32 v192, 0x3f2c7751, v98
	s_delay_alu instid0(VALU_DEP_4)
	v_add_f32_e32 v46, v211, v47
	v_mul_f32_e32 v211, 0xbf763a35, v95
	v_fmamk_f32 v213, v98, 0x3f763a35, v210
	v_fma_f32 v173, 0xbe8c1d8e, v66, -v202
	v_fmac_f32_e32 v185, 0x3f4c4adb, v92
	v_fmac_f32_e32 v210, 0xbf763a35, v98
	v_fmamk_f32 v198, v63, 0xbe8c1d8e, v211
	v_add_f32_e32 v46, v213, v46
	v_mul_f32_e32 v88, 0xbf4c4adb, v88
	v_add_f32_e32 v48, v185, v48
	v_add_f32_e32 v144, v147, v144
	v_fma_f32 v147, 0x3f6eb680, v57, -v151
	v_dual_add_f32 v152, v153, v152 :: v_dual_mul_f32 v145, 0x3dbcf732, v57
	s_delay_alu instid0(VALU_DEP_4)
	v_add_f32_e32 v188, v188, v48
	v_fmamk_f32 v206, v57, 0x3f3d2fb0, v209
	v_fma_f32 v153, 0x3f3d2fb0, v62, -v180
	v_sub_f32_e32 v33, v143, v68
	v_add_f32_e32 v152, v154, v152
	v_dual_add_f32 v154, v160, v159 :: v_dual_mul_f32 v151, 0x3ee437d1, v56
	v_add_f32_e32 v47, v206, v203
	v_fmamk_f32 v203, v59, 0xbf1a4643, v212
	v_mul_f32_e32 v206, 0x3f65296c, v93
	v_fma_f32 v159, 0x3ee437d1, v57, -v163
	v_add_f32_e32 v153, v153, v169
	v_fma_f32 v160, 0xbf7ba420, v63, -v181
	v_add_f32_e32 v47, v203, v47
	v_fmamk_f32 v203, v62, 0x3ee437d1, v206
	v_fmac_f32_e32 v208, 0x3f65296c, v97
	v_dual_mul_f32 v93, 0x3f763a35, v93 :: v_dual_sub_f32 v32, v145, v72
	v_dual_add_f32 v154, v159, v154 :: v_dual_fmac_f32 v125, 0x3f763a35, v92
	s_delay_alu instid0(VALU_DEP_4) | instskip(SKIP_3) | instid1(VALU_DEP_4)
	v_add_f32_e32 v47, v203, v47
	v_fma_f32 v159, 0xbf7ba420, v59, -v166
	v_fmac_f32_e32 v158, 0x3f7ee86f, v97
	v_dual_mul_f32 v92, 0xbe3c28d5, v92 :: v_dual_add_f32 v21, v25, v21
	v_dual_add_f32 v198, v198, v47 :: v_dual_add_f32 v47, v199, v0
	v_fma_f32 v199, 0x3f6eb680, v52, -v204
	v_fma_f32 v204, 0xbf59a7d5, v54, -v207
	v_dual_add_f32 v144, v147, v144 :: v_dual_mul_f32 v147, 0x3dbcf732, v58
	v_dual_add_f32 v152, v155, v152 :: v_dual_mul_f32 v141, 0xbe8c1d8e, v59
	s_delay_alu instid0(VALU_DEP_4) | instskip(SKIP_3) | instid1(VALU_DEP_4)
	v_dual_add_f32 v199, v199, v47 :: v_dual_add_f32 v160, v160, v153
	v_mul_f32_e32 v127, 0xbf59a7d5, v63
	v_add_f32_e32 v155, v178, v171
	v_add_f32_e32 v125, v125, v126
	;; [unrolled: 1-line block ×3, first 2 shown]
	v_fmac_f32_e32 v205, 0xbf4c4adb, v94
	v_dual_mul_f32 v201, 0x3dbcf732, v67 :: v_dual_add_f32 v152, v157, v152
	v_mul_f32_e32 v135, 0xbf59a7d5, v65
	v_add_f32_e32 v153, v159, v154
	s_delay_alu instid0(VALU_DEP_4) | instskip(NEXT) | instid1(VALU_DEP_4)
	v_add_f32_e32 v194, v205, v194
	v_fmamk_f32 v200, v119, 0xbf7ee86f, v201
	v_mul_f32_e32 v203, 0x3f7ee86f, v96
	v_fma_f32 v154, 0x3dbcf732, v62, -v167
	v_add_f32_e32 v125, v124, v125
	v_add_f32_e32 v194, v208, v194
	s_delay_alu instid0(VALU_DEP_4) | instskip(SKIP_2) | instid1(VALU_DEP_4)
	v_dual_add_f32 v47, v200, v46 :: v_dual_fmamk_f32 v46, v66, 0x3dbcf732, v203
	v_fma_f32 v200, 0x3f3d2fb0, v57, -v209
	v_fma_f32 v185, 0x3dbcf732, v66, -v203
	v_add_f32_e32 v194, v210, v194
	v_dual_add_f32 v152, v158, v152 :: v_dual_mul_f32 v133, 0xbf7ba420, v67
	v_dual_add_f32 v46, v46, v198 :: v_dual_fmac_f32 v201, 0x3f7ee86f, v119
	v_add_f32_e32 v198, v200, v199
	v_fma_f32 v199, 0xbf1a4643, v59, -v212
	v_add_f32_e32 v154, v154, v153
	v_fma_f32 v158, 0x3f6eb680, v63, -v168
	v_add_f32_e32 v123, v123, v125
	v_fma_f32 v157, 0x3ee437d1, v66, -v186
	v_add_f32_e32 v198, v199, v198
	v_fma_f32 v199, 0x3ee437d1, v62, -v206
	v_add_f32_e32 v153, v182, v155
	v_add_f32_e32 v155, v156, v152
	v_fma_f32 v156, 0xbf1a4643, v66, -v172
	s_delay_alu instid0(VALU_DEP_4) | instskip(SKIP_4) | instid1(VALU_DEP_3)
	v_dual_add_f32 v122, v122, v123 :: v_dual_add_f32 v49, v199, v198
	v_fma_f32 v198, 0xbe8c1d8e, v63, -v211
	v_dual_fmamk_f32 v123, v55, 0x3f3d2fb0, v89 :: v_dual_add_f32 v154, v158, v154
	v_dual_mul_f32 v91, 0xbf7ee86f, v91 :: v_dual_add_f32 v152, v157, v160
	v_mul_f32_e32 v131, 0xbf7ee86f, v85
	v_dual_add_f32 v183, v198, v49 :: v_dual_add_f32 v154, v156, v154
	s_delay_alu instid0(VALU_DEP_3) | instskip(SKIP_1) | instid1(VALU_DEP_3)
	v_dual_add_f32 v84, v123, v1 :: v_dual_fmamk_f32 v123, v53, 0x3dbcf732, v91
	v_fma_f32 v125, 0x3f3d2fb0, v66, -v137
	v_dual_add_f32 v48, v185, v183 :: v_dual_fmamk_f32 v85, v56, 0xbf1a4643, v88
	v_dual_mul_f32 v94, 0x3f06c442, v94 :: v_dual_add_f32 v21, v27, v21
	s_delay_alu instid0(VALU_DEP_4) | instskip(SKIP_2) | instid1(VALU_DEP_4)
	v_add_f32_e32 v84, v123, v84
	v_add_f32_e32 v123, v129, v0
	v_fma_f32 v129, 0x3dbcf732, v52, -v131
	v_dual_mul_f32 v90, 0x3f06c442, v90 :: v_dual_add_f32 v21, v29, v21
	v_dual_mul_f32 v98, 0x3f65296c, v98 :: v_dual_add_f32 v183, v187, v184
	s_delay_alu instid0(VALU_DEP_3)
	v_add_f32_e32 v123, v129, v123
	v_fma_f32 v129, 0xbf1a4643, v54, -v86
	v_mul_f32_e32 v140, 0x3f3d2fb0, v52
	v_fmac_f32_e32 v86, 0xbf1a4643, v54
	v_fma_f32 v184, 0xbf7ba420, v62, -v196
	v_add_f32_e32 v155, v162, v155
	v_add_f32_e32 v123, v129, v123
	v_dual_sub_f32 v69, v140, v69 :: v_dual_fmac_f32 v120, 0xbf06c442, v119
	v_mul_f32_e32 v119, 0x3eb8f4ab, v119
	v_mul_f32_e32 v142, 0x3f6eb680, v51
	v_fma_f32 v129, 0xbf7ba420, v57, -v87
	v_mul_f32_e32 v97, 0x3f763a35, v97
	v_fmac_f32_e32 v87, 0xbf7ba420, v57
	v_fmamk_f32 v137, v67, 0x3f6eb680, v119
	v_dual_mul_f32 v126, 0xbf7ba420, v66 :: v_dual_sub_f32 v73, v142, v73
	v_add_f32_e32 v124, v136, v139
	v_add_f32_e32 v123, v129, v123
	v_fma_f32 v129, 0xbf59a7d5, v59, -v90
	s_delay_alu instid0(VALU_DEP_4) | instskip(SKIP_2) | instid1(VALU_DEP_4)
	v_dual_mul_f32 v134, 0xbf1a4643, v62 :: v_dual_add_f32 v73, v73, v0
	v_add_f32_e32 v21, v31, v21
	v_mul_f32_e32 v95, 0x3f65296c, v95
	v_add_f32_e32 v123, v129, v123
	v_fma_f32 v129, 0xbe8c1d8e, v62, -v93
	v_dual_add_f32 v69, v69, v73 :: v_dual_mul_f32 v148, 0x3f6eb680, v55
	v_add_f32_e32 v17, v17, v21
	v_dual_fmac_f32 v93, 0xbe8c1d8e, v62 :: v_dual_add_f32 v0, v130, v0
	s_delay_alu instid0(VALU_DEP_3) | instskip(SKIP_3) | instid1(VALU_DEP_4)
	v_add_f32_e32 v33, v33, v69
	v_dual_add_f32 v84, v85, v84 :: v_dual_fmamk_f32 v85, v58, 0xbf7ba420, v92
	v_add_f32_e32 v144, v146, v144
	v_mul_f32_e32 v146, 0xbe8c1d8e, v61
	v_dual_add_f32 v25, v32, v33 :: v_dual_sub_f32 v32, v141, v75
	s_delay_alu instid0(VALU_DEP_4) | instskip(NEXT) | instid1(VALU_DEP_4)
	v_add_f32_e32 v84, v85, v84
	v_dual_fmamk_f32 v85, v61, 0xbf59a7d5, v94 :: v_dual_add_f32 v144, v150, v144
	s_delay_alu instid0(VALU_DEP_3) | instskip(NEXT) | instid1(VALU_DEP_2)
	v_dual_fmac_f32 v131, 0x3dbcf732, v52 :: v_dual_add_f32 v24, v32, v25
	v_dual_sub_f32 v25, v134, v77 :: v_dual_add_f32 v84, v85, v84
	v_fmamk_f32 v85, v64, 0xbe8c1d8e, v97
	s_delay_alu instid0(VALU_DEP_4) | instskip(NEXT) | instid1(VALU_DEP_3)
	v_dual_add_f32 v19, v19, v17 :: v_dual_add_f32 v136, v138, v144
	v_add_f32_e32 v24, v25, v24
	v_sub_f32_e32 v25, v127, v80
	s_delay_alu instid0(VALU_DEP_4) | instskip(SKIP_4) | instid1(VALU_DEP_4)
	v_add_f32_e32 v84, v85, v84
	v_dual_fmamk_f32 v85, v65, 0x3ee437d1, v98 :: v_dual_add_f32 v70, v70, v151
	v_add_f32_e32 v13, v13, v19
	v_add_f32_e32 v123, v129, v123
	v_fma_f32 v129, 0x3ee437d1, v63, -v95
	v_dual_add_f32 v132, v85, v84 :: v_dual_add_f32 v21, v83, v133
	v_dual_add_f32 v85, v120, v122 :: v_dual_add_f32 v120, v78, v148
	v_mul_f32_e32 v150, 0xbf1a4643, v64
	s_delay_alu instid0(VALU_DEP_3) | instskip(SKIP_1) | instid1(VALU_DEP_4)
	v_dual_add_f32 v78, v137, v132 :: v_dual_add_f32 v13, v15, v13
	v_add_f32_e32 v0, v131, v0
	v_add_f32_e32 v120, v120, v1
	v_fmac_f32_e32 v90, 0xbf59a7d5, v59
	v_fma_f32 v19, 0x3dbcf732, v53, -v91
	v_add_f32_e32 v9, v9, v13
	v_fma_f32 v13, 0xbf7ba420, v58, -v92
	v_add_f32_e32 v23, v71, v120
	v_add_f32_e32 v0, v86, v0
	v_fma_f32 v15, 0xbf1a4643, v56, -v88
	v_add_f32_e32 v9, v11, v9
	v_fma_f32 v11, 0xbf59a7d5, v61, -v94
	v_add_f32_e32 v22, v70, v23
	v_dual_add_f32 v23, v74, v147 :: v_dual_add_f32 v0, v87, v0
	s_delay_alu instid0(VALU_DEP_4) | instskip(SKIP_1) | instid1(VALU_DEP_3)
	v_add_f32_e32 v5, v5, v9
	v_add_f32_e32 v185, v190, v188
	v_dual_add_f32 v183, v184, v183 :: v_dual_add_f32 v22, v23, v22
	v_dual_add_f32 v23, v76, v146 :: v_dual_add_f32 v84, v121, v128
	;; [unrolled: 1-line block ×3, first 2 shown]
	v_fma_f32 v184, 0x3f3d2fb0, v63, -v195
	s_delay_alu instid0(VALU_DEP_3) | instskip(SKIP_4) | instid1(VALU_DEP_4)
	v_add_f32_e32 v22, v23, v22
	v_add_f32_e32 v23, v79, v150
	;; [unrolled: 1-line block ×5, first 2 shown]
	v_dual_fmac_f32 v95, 0x3ee437d1, v63 :: v_dual_add_f32 v22, v23, v22
	v_add_f32_e32 v23, v81, v135
	v_add_f32_e32 v165, v197, v165
	s_delay_alu instid0(VALU_DEP_4) | instskip(NEXT) | instid1(VALU_DEP_3)
	v_add_f32_e32 v164, v173, v183
	v_dual_add_f32 v123, v125, v136 :: v_dual_add_f32 v22, v23, v22
	s_delay_alu instid0(VALU_DEP_1) | instskip(SKIP_1) | instid1(VALU_DEP_2)
	v_dual_mul_f32 v96, 0x3eb8f4ab, v96 :: v_dual_add_f32 v17, v21, v22
	v_fma_f32 v21, 0x3f3d2fb0, v55, -v89
	v_fma_f32 v122, 0x3f6eb680, v66, -v96
	s_delay_alu instid0(VALU_DEP_2) | instskip(NEXT) | instid1(VALU_DEP_2)
	v_dual_fmac_f32 v96, 0x3f6eb680, v66 :: v_dual_add_f32 v1, v21, v1
	v_add_f32_e32 v77, v122, v121
	s_delay_alu instid0(VALU_DEP_2) | instskip(NEXT) | instid1(VALU_DEP_1)
	v_add_f32_e32 v1, v19, v1
	v_add_f32_e32 v1, v15, v1
	s_delay_alu instid0(VALU_DEP_1) | instskip(NEXT) | instid1(VALU_DEP_1)
	v_dual_add_f32 v1, v13, v1 :: v_dual_add_f32 v20, v26, v20
	v_dual_add_f32 v9, v11, v1 :: v_dual_add_f32 v20, v28, v20
	v_add_f32_e32 v1, v7, v5
	v_mul_lo_u16 v7, v116, 17
	v_add_f32_e32 v23, v25, v24
	s_delay_alu instid0(VALU_DEP_4) | instskip(NEXT) | instid1(VALU_DEP_1)
	v_add_f32_e32 v20, v30, v20
	v_add_f32_e32 v20, v16, v20
	s_delay_alu instid0(VALU_DEP_1) | instskip(NEXT) | instid1(VALU_DEP_1)
	v_add_f32_e32 v18, v18, v20
	v_add_f32_e32 v12, v12, v18
	s_delay_alu instid0(VALU_DEP_1) | instskip(NEXT) | instid1(VALU_DEP_1)
	v_add_f32_e32 v12, v14, v12
	v_add_f32_e32 v8, v8, v12
	s_delay_alu instid0(VALU_DEP_1) | instskip(SKIP_1) | instid1(VALU_DEP_1)
	v_add_f32_e32 v8, v10, v8
	v_fma_f32 v10, 0xbe8c1d8e, v64, -v97
	v_dual_add_f32 v4, v4, v8 :: v_dual_add_f32 v5, v10, v9
	v_fma_f32 v8, 0x3ee437d1, v65, -v98
	v_dual_add_f32 v9, v93, v0 :: v_dual_sub_f32 v24, v126, v82
	s_delay_alu instid0(VALU_DEP_3) | instskip(NEXT) | instid1(VALU_DEP_3)
	v_add_f32_e32 v0, v6, v4
	v_dual_add_f32 v5, v8, v5 :: v_dual_and_b32 v4, 0xffff, v7
	s_delay_alu instid0(VALU_DEP_3) | instskip(SKIP_1) | instid1(VALU_DEP_3)
	v_dual_add_f32 v7, v95, v9 :: v_dual_add_f32 v16, v24, v23
	v_fma_f32 v6, 0x3f6eb680, v67, -v119
	v_add_lshl_u32 v8, v50, v4, 3
	s_delay_alu instid0(VALU_DEP_2)
	v_dual_add_f32 v4, v96, v7 :: v_dual_add_f32 v5, v6, v5
	ds_store_2addr_b64 v8, v[0:1], v[16:17] offset1:1
	ds_store_2addr_b64 v8, v[77:78], v[84:85] offset0:2 offset1:3
	ds_store_2addr_b64 v8, v[123:124], v[154:155] offset0:4 offset1:5
	;; [unrolled: 1-line block ×7, first 2 shown]
	ds_store_b64 v8, v[2:3] offset:128
.LBB0_7:
	s_wait_alu 0xfffe
	s_or_b32 exec_lo, exec_lo, s0
	v_add_nc_u16 v4, v116, 34
	v_add_nc_u16 v6, v116, 0x44
	v_add_co_u32 v5, s0, 0xffffffef, v116
	s_wait_alu 0xf1ff
	v_add_co_ci_u32_e64 v7, null, 0, -1, s0
	v_and_b32_e32 v0, 0xff, v4
	v_and_b32_e32 v1, 0xff, v6
	v_cmp_gt_u16_e64 s0, 17, v116
	s_load_b128 s[4:7], s[4:5], 0x0
	global_wb scope:SCOPE_SE
	s_wait_dscnt 0x0
	v_mul_lo_u16 v0, 0xf1, v0
	v_mul_lo_u16 v8, 0xf1, v1
	v_cndmask_b32_e64 v1, v7, 0, s0
	s_wait_kmcnt 0x0
	s_barrier_signal -1
	s_barrier_wait -1
	v_lshrrev_b16 v38, 12, v0
	v_cndmask_b32_e64 v0, v5, v116, s0
	v_lshrrev_b16 v39, 12, v8
	global_inv scope:SCOPE_SE
	v_add_nc_u16 v8, v116, 0x66
	v_mul_lo_u16 v5, v38, 17
	v_add_nc_u16 v12, v116, 0xcc
	v_mul_lo_u16 v9, v39, 17
	v_add_co_u32 v7, null, 0xee, v116
	s_delay_alu instid0(VALU_DEP_4) | instskip(SKIP_1) | instid1(VALU_DEP_4)
	v_sub_nc_u16 v40, v4, v5
	v_lshlrev_b64_e32 v[4:5], 3, v[0:1]
	v_sub_nc_u16 v6, v6, v9
	v_add_nc_u16 v1, v116, 0x88
	v_add_lshl_u32 v120, v50, v116, 3
	v_mad_u16 v38, v38, 34, v40
	v_lshl_add_u32 v119, v116, 3, v118
	v_add_co_u32 v4, s0, s2, v4
	s_wait_alu 0xf1ff
	v_add_co_ci_u32_e64 v5, s0, s3, v5, s0
	v_and_b32_e32 v41, 0xff, v6
	v_add_nc_u16 v6, v116, 0xaa
	v_cmp_lt_u16_e64 s0, 16, v116
	global_load_b64 v[65:66], v[4:5], off
	v_and_b32_e32 v9, 0xff, v40
	v_lshlrev_b32_e32 v13, 3, v41
	v_and_b32_e32 v14, 0xff, v6
	s_wait_alu 0xf1ff
	v_cndmask_b32_e64 v20, 0, 34, s0
	v_mad_co_u64_u32 v[36:37], null, 0x78, v116, s[2:3]
	v_lshlrev_b32_e32 v9, 3, v9
	global_load_b64 v[73:74], v13, s[2:3]
	v_and_b32_e32 v10, 0xff, v8
	v_mul_lo_u16 v14, 0xf1, v14
	v_lshl_add_u32 v121, v116, 3, v118
	global_load_b64 v[71:72], v9, s[2:3]
	v_add_nc_u32_e32 v82, 0x800, v119
	v_mul_lo_u16 v10, 0xf1, v10
	v_lshrrev_b16 v44, 12, v14
	s_delay_alu instid0(VALU_DEP_2) | instskip(SKIP_1) | instid1(VALU_DEP_3)
	v_lshrrev_b16 v42, 12, v10
	v_and_b32_e32 v10, 0xff, v12
	v_mul_lo_u16 v5, v44, 17
	s_delay_alu instid0(VALU_DEP_3) | instskip(NEXT) | instid1(VALU_DEP_3)
	v_mul_lo_u16 v15, v42, 17
	v_mul_lo_u16 v10, 0xf1, v10
	s_delay_alu instid0(VALU_DEP_3) | instskip(NEXT) | instid1(VALU_DEP_3)
	v_sub_nc_u16 v5, v6, v5
	v_sub_nc_u16 v4, v8, v15
	s_delay_alu instid0(VALU_DEP_3) | instskip(NEXT) | instid1(VALU_DEP_3)
	v_lshrrev_b16 v45, 12, v10
	v_and_b32_e32 v49, 0xff, v5
	s_delay_alu instid0(VALU_DEP_3) | instskip(NEXT) | instid1(VALU_DEP_3)
	v_and_b32_e32 v47, 0xff, v4
	v_mul_lo_u16 v8, v45, 17
	s_delay_alu instid0(VALU_DEP_1) | instskip(NEXT) | instid1(VALU_DEP_3)
	v_sub_nc_u16 v6, v12, v8
	v_lshlrev_b32_e32 v8, 3, v47
	s_delay_alu instid0(VALU_DEP_2) | instskip(SKIP_3) | instid1(VALU_DEP_2)
	v_and_b32_e32 v51, 0xff, v6
	global_load_b64 v[75:76], v8, s[2:3]
	v_and_b32_e32 v11, 0xff, v1
	v_lshlrev_b32_e32 v6, 3, v49
	v_mul_lo_u16 v11, 0xf1, v11
	s_delay_alu instid0(VALU_DEP_1) | instskip(SKIP_1) | instid1(VALU_DEP_2)
	v_lshrrev_b16 v43, 12, v11
	v_and_b32_e32 v11, 0xffff, v7
	v_mul_lo_u16 v16, v43, 17
	s_delay_alu instid0(VALU_DEP_2) | instskip(NEXT) | instid1(VALU_DEP_2)
	v_mul_u32_u24_e32 v11, 0xf0f1, v11
	v_sub_nc_u16 v1, v1, v16
	s_delay_alu instid0(VALU_DEP_2) | instskip(NEXT) | instid1(VALU_DEP_2)
	v_lshrrev_b32_e32 v46, 20, v11
	v_and_b32_e32 v1, 0xff, v1
	s_delay_alu instid0(VALU_DEP_2) | instskip(NEXT) | instid1(VALU_DEP_1)
	v_mul_lo_u16 v4, v46, 17
	v_sub_nc_u16 v48, v7, v4
	s_delay_alu instid0(VALU_DEP_3) | instskip(SKIP_1) | instid1(VALU_DEP_3)
	v_lshlrev_b32_e32 v4, 3, v1
	v_lshlrev_b32_e32 v7, 3, v51
	v_and_b32_e32 v5, 0xffff, v48
	global_load_b64 v[69:70], v4, s[2:3]
	v_lshlrev_b32_e32 v4, 3, v5
	s_clause 0x2
	global_load_b64 v[67:68], v6, s[2:3]
	global_load_b64 v[63:64], v7, s[2:3]
	;; [unrolled: 1-line block ×3, first 2 shown]
	ds_load_2addr_b64 v[4:7], v120 offset1:34
	ds_load_2addr_b64 v[8:11], v120 offset0:68 offset1:102
	ds_load_2addr_b64 v[12:15], v120 offset0:136 offset1:170
	;; [unrolled: 1-line block ×3, first 2 shown]
	v_add_nc_u32_e32 v79, 0x800, v120
	v_add_nc_u32_e32 v0, v0, v20
	ds_load_2addr_b64 v[20:23], v79 offset0:16 offset1:50
	ds_load_2addr_b64 v[24:27], v79 offset0:84 offset1:118
	;; [unrolled: 1-line block ×4, first 2 shown]
	v_add_lshl_u32 v122, v50, v0, 3
	v_and_b32_e32 v0, 0xffff, v39
	v_and_b32_e32 v39, 0xffff, v42
	;; [unrolled: 1-line block ×5, first 2 shown]
	global_wb scope:SCOPE_SE
	s_wait_loadcnt_dscnt 0x0
	v_mul_u32_u24_e32 v39, 34, v39
	v_mul_u32_u24_e32 v40, 34, v42
	;; [unrolled: 1-line block ×4, first 2 shown]
	v_mad_u16 v44, v46, 34, v48
	s_barrier_signal -1
	v_add_nc_u32_e32 v1, v40, v1
	s_barrier_wait -1
	global_inv scope:SCOPE_SE
	v_add_lshl_u32 v126, v50, v1, 3
	v_mul_f32_e32 v45, v30, v68
	v_mul_f32_e32 v46, v33, v64
	;; [unrolled: 1-line block ×3, first 2 shown]
	v_add_nc_u32_e32 v39, v39, v47
	v_dual_mul_f32 v47, v32, v64 :: v_dual_add_nc_u32 v40, v42, v49
	v_dual_mul_f32 v49, v34, v62 :: v_dual_and_b32 v42, 0xffff, v44
	s_delay_alu instid0(VALU_DEP_3) | instskip(SKIP_1) | instid1(VALU_DEP_3)
	v_add_lshl_u32 v127, v50, v39, 3
	v_mul_f32_e32 v39, v24, v74
	v_dual_mul_f32 v44, v20, v66 :: v_dual_fmac_f32 v49, v35, v61
	v_fmac_f32_e32 v47, v33, v63
	v_add_lshl_u32 v125, v50, v40, 3
	s_delay_alu instid0(VALU_DEP_4) | instskip(SKIP_4) | instid1(VALU_DEP_4)
	v_fmac_f32_e32 v39, v25, v73
	v_mul_u32_u24_e32 v0, 34, v0
	v_mul_f32_e32 v40, v27, v76
	v_dual_fmac_f32 v44, v21, v65 :: v_dual_fmac_f32 v45, v31, v67
	v_add_lshl_u32 v123, v50, v42, 3
	v_add_nc_u32_e32 v0, v0, v41
	v_add_nc_u32_e32 v41, v43, v51
	v_mul_f32_e32 v43, v21, v66
	v_sub_f32_e32 v1, v5, v44
	v_mul_f32_e32 v21, v22, v72
	v_add_lshl_u32 v128, v50, v0, 3
	v_add_lshl_u32 v124, v50, v41, 3
	v_fma_f32 v20, v20, v65, -v43
	v_dual_mul_f32 v41, v26, v76 :: v_dual_and_b32 v38, 0xff, v38
	v_fma_f32 v5, v5, 2.0, -v1
	v_mul_f32_e32 v42, v29, v70
	s_delay_alu instid0(VALU_DEP_3) | instskip(SKIP_3) | instid1(VALU_DEP_4)
	v_dual_sub_f32 v0, v4, v20 :: v_dual_fmac_f32 v41, v27, v75
	v_mul_f32_e32 v20, v23, v72
	v_add_lshl_u32 v129, v50, v38, 3
	v_mul_f32_e32 v38, v25, v74
	v_fma_f32 v4, v4, 2.0, -v0
	v_dual_mul_f32 v43, v28, v70 :: v_dual_mul_f32 v44, v31, v68
	v_fmac_f32_e32 v21, v23, v71
	v_sub_f32_e32 v25, v15, v45
	ds_store_2addr_b64 v122, v[4:5], v[0:1] offset1:17
	v_fma_f32 v0, v22, v71, -v20
	v_fma_f32 v4, v24, v73, -v38
	;; [unrolled: 1-line block ×4, first 2 shown]
	v_fmac_f32_e32 v43, v29, v69
	v_fma_f32 v24, v30, v67, -v44
	v_fma_f32 v26, v32, v63, -v46
	;; [unrolled: 1-line block ×3, first 2 shown]
	v_dual_sub_f32 v0, v6, v0 :: v_dual_sub_f32 v1, v7, v21
	v_dual_sub_f32 v4, v8, v4 :: v_dual_sub_f32 v5, v9, v39
	;; [unrolled: 1-line block ×4, first 2 shown]
	v_sub_f32_e32 v24, v14, v24
	v_dual_sub_f32 v26, v16, v26 :: v_dual_sub_f32 v27, v17, v47
	v_dual_sub_f32 v28, v18, v28 :: v_dual_sub_f32 v29, v19, v49
	v_fma_f32 v6, v6, 2.0, -v0
	v_fma_f32 v7, v7, 2.0, -v1
	;; [unrolled: 1-line block ×14, first 2 shown]
	ds_store_2addr_b64 v129, v[6:7], v[0:1] offset1:17
	ds_store_2addr_b64 v128, v[8:9], v[4:5] offset1:17
	;; [unrolled: 1-line block ×7, first 2 shown]
	global_wb scope:SCOPE_SE
	s_wait_dscnt 0x0
	s_barrier_signal -1
	s_barrier_wait -1
	global_inv scope:SCOPE_SE
	s_clause 0x7
	global_load_b128 v[28:31], v[36:37], off offset:136
	global_load_b128 v[20:23], v[36:37], off offset:152
	;; [unrolled: 1-line block ×7, first 2 shown]
	global_load_b64 v[77:78], v[36:37], off offset:248
	ds_load_2addr_b64 v[32:35], v120 offset1:34
	ds_load_2addr_b64 v[36:39], v120 offset0:68 offset1:102
	ds_load_2addr_b64 v[40:43], v120 offset0:136 offset1:170
	;; [unrolled: 1-line block ×7, first 2 shown]
	s_wait_loadcnt_dscnt 0x707
	v_dual_mul_f32 v0, v35, v29 :: v_dual_add_nc_u32 v81, 0x400, v119
	v_mul_f32_e32 v1, v34, v29
	s_wait_dscnt 0x6
	v_mul_f32_e32 v79, v37, v31
	s_wait_loadcnt 0x6
	v_dual_mul_f32 v80, v36, v31 :: v_dual_mul_f32 v87, v39, v21
	s_wait_loadcnt_dscnt 0x302
	v_mul_f32_e32 v132, v53, v27
	v_dual_mul_f32 v88, v38, v21 :: v_dual_mul_f32 v89, v41, v23
	s_wait_loadcnt_dscnt 0x0
	v_mul_f32_e32 v142, v86, v78
	v_dual_mul_f32 v90, v40, v23 :: v_dual_mul_f32 v91, v43, v13
	v_mul_f32_e32 v136, v57, v19
	v_dual_mul_f32 v93, v45, v15 :: v_dual_fmac_f32 v88, v39, v20
	v_dual_mul_f32 v94, v44, v15 :: v_dual_mul_f32 v95, v47, v5
	v_mul_f32_e32 v140, v84, v11
	v_mul_f32_e32 v98, v48, v7
	v_dual_mul_f32 v133, v52, v27 :: v_dual_fmac_f32 v90, v41, v22
	s_delay_alu instid0(VALU_DEP_4)
	v_dual_mul_f32 v135, v54, v17 :: v_dual_fmac_f32 v94, v45, v14
	v_mul_f32_e32 v92, v42, v13
	v_dual_mul_f32 v96, v46, v5 :: v_dual_mul_f32 v97, v49, v7
	v_mul_f32_e32 v130, v51, v25
	v_dual_mul_f32 v131, v50, v25 :: v_dual_fmac_f32 v80, v37, v30
	v_mul_f32_e32 v134, v55, v17
	v_mul_f32_e32 v138, v59, v9
	v_dual_mul_f32 v139, v58, v9 :: v_dual_fmac_f32 v98, v49, v6
	v_fma_f32 v0, v34, v28, -v0
	v_fmac_f32_e32 v1, v35, v28
	v_fma_f32 v34, v36, v30, -v79
	v_fma_f32 v35, v38, v20, -v87
	;; [unrolled: 1-line block ×7, first 2 shown]
	v_fmac_f32_e32 v135, v55, v16
	v_fmac_f32_e32 v133, v53, v26
	v_fma_f32 v44, v56, v18, -v136
	v_fma_f32 v46, v83, v10, -v140
	v_dual_mul_f32 v137, v56, v19 :: v_dual_fmac_f32 v96, v47, v4
	s_delay_alu instid0(VALU_DEP_3)
	v_dual_mul_f32 v143, v85, v78 :: v_dual_sub_f32 v44, v36, v44
	v_fmac_f32_e32 v92, v43, v12
	v_fma_f32 v40, v48, v6, -v97
	v_fma_f32 v41, v50, v24, -v130
	v_dual_fmac_f32 v131, v51, v24 :: v_dual_sub_f32 v42, v34, v42
	v_fma_f32 v43, v54, v16, -v134
	v_fma_f32 v45, v58, v8, -v138
	v_dual_fmac_f32 v139, v59, v8 :: v_dual_sub_f32 v46, v38, v46
	v_sub_f32_e32 v48, v33, v98
	v_sub_f32_e32 v54, v88, v135
	v_dual_sub_f32 v50, v80, v133 :: v_dual_mul_f32 v141, v83, v11
	v_dual_sub_f32 v40, v32, v40 :: v_dual_fmac_f32 v137, v57, v18
	v_fma_f32 v47, v85, v77, -v142
	v_sub_f32_e32 v41, v0, v41
	v_fma_f32 v36, v36, 2.0, -v44
	v_fma_f32 v34, v34, 2.0, -v42
	;; [unrolled: 1-line block ×3, first 2 shown]
	v_dual_add_f32 v46, v50, v46 :: v_dual_sub_f32 v45, v37, v45
	v_add_f32_e32 v44, v48, v44
	v_dual_fmac_f32 v141, v84, v10 :: v_dual_sub_f32 v52, v1, v131
	v_fma_f32 v32, v32, 2.0, -v40
	v_fmac_f32_e32 v143, v86, v77
	v_fma_f32 v33, v33, 2.0, -v48
	v_sub_f32_e32 v49, v90, v137
	v_fma_f32 v57, v80, 2.0, -v50
	v_fma_f32 v0, v0, 2.0, -v41
	;; [unrolled: 1-line block ×3, first 2 shown]
	v_sub_f32_e32 v38, v34, v38
	v_fma_f32 v37, v37, 2.0, -v45
	v_fma_f32 v50, v50, 2.0, -v46
	v_sub_f32_e32 v47, v39, v47
	v_fma_f32 v56, v90, 2.0, -v49
	v_sub_f32_e32 v36, v32, v36
	v_sub_f32_e32 v37, v0, v37
	v_dual_add_f32 v45, v52, v45 :: v_dual_fmamk_f32 v90, v50, 0xbf3504f3, v48
	v_fma_f32 v39, v39, 2.0, -v47
	v_add_f32_e32 v47, v54, v47
	v_sub_f32_e32 v55, v96, v143
	v_sub_f32_e32 v51, v94, v141
	v_fma_f32 v79, v88, 2.0, -v54
	v_dual_sub_f32 v43, v35, v43 :: v_dual_fmamk_f32 v84, v46, 0x3f3504f3, v44
	v_fmamk_f32 v86, v47, 0x3f3504f3, v45
	v_fma_f32 v80, v96, 2.0, -v55
	v_sub_f32_e32 v53, v92, v139
	v_fma_f32 v58, v94, 2.0, -v51
	v_fma_f32 v1, v1, 2.0, -v52
	;; [unrolled: 1-line block ×3, first 2 shown]
	v_sub_f32_e32 v80, v79, v80
	v_fma_f32 v59, v92, 2.0, -v53
	v_dual_sub_f32 v58, v57, v58 :: v_dual_sub_f32 v55, v43, v55
	v_sub_f32_e32 v56, v33, v56
	v_fma_f32 v32, v32, 2.0, -v36
	s_delay_alu instid0(VALU_DEP_4) | instskip(NEXT) | instid1(VALU_DEP_4)
	v_sub_f32_e32 v59, v1, v59
	v_fma_f32 v57, v57, 2.0, -v58
	v_fma_f32 v43, v43, 2.0, -v55
	;; [unrolled: 1-line block ×3, first 2 shown]
	v_add_f32_e32 v91, v56, v38
	v_fma_f32 v88, v1, 2.0, -v59
	v_fma_f32 v1, v79, 2.0, -v80
	v_dual_sub_f32 v79, v36, v58 :: v_dual_sub_f32 v58, v37, v80
	v_sub_f32_e32 v39, v35, v39
	v_sub_f32_e32 v53, v41, v53
	s_delay_alu instid0(VALU_DEP_4)
	v_sub_f32_e32 v38, v88, v1
	v_fma_f32 v54, v54, 2.0, -v47
	v_fma_f32 v52, v52, 2.0, -v45
	v_add_f32_e32 v80, v59, v39
	v_fma_f32 v41, v41, 2.0, -v53
	v_sub_f32_e32 v51, v42, v51
	v_sub_f32_e32 v49, v40, v49
	v_fma_f32 v33, v33, 2.0, -v56
	s_delay_alu instid0(VALU_DEP_2) | instskip(SKIP_1) | instid1(VALU_DEP_2)
	v_dual_fmac_f32 v84, 0x3f3504f3, v51 :: v_dual_fmamk_f32 v83, v51, 0x3f3504f3, v49
	v_fma_f32 v40, v40, 2.0, -v49
	v_fma_f32 v44, v44, 2.0, -v84
	s_delay_alu instid0(VALU_DEP_3) | instskip(SKIP_3) | instid1(VALU_DEP_3)
	v_fmac_f32_e32 v83, 0xbf3504f3, v46
	v_fmamk_f32 v46, v43, 0xbf3504f3, v41
	v_fma_f32 v42, v42, 2.0, -v51
	v_fmamk_f32 v51, v54, 0xbf3504f3, v52
	v_fmac_f32_e32 v46, 0xbf3504f3, v54
	s_delay_alu instid0(VALU_DEP_3) | instskip(SKIP_3) | instid1(VALU_DEP_4)
	v_dual_fmac_f32 v90, 0x3f3504f3, v42 :: v_dual_fmamk_f32 v85, v55, 0x3f3504f3, v53
	v_fmac_f32_e32 v86, 0x3f3504f3, v55
	v_fma_f32 v87, v0, 2.0, -v37
	v_fma_f32 v59, v59, 2.0, -v80
	;; [unrolled: 1-line block ×3, first 2 shown]
	v_fmac_f32_e32 v85, 0xbf3504f3, v47
	v_fma_f32 v48, v88, 2.0, -v38
	v_fmac_f32_e32 v51, 0x3f3504f3, v43
	v_fma_f32 v45, v45, 2.0, -v86
	v_fmamk_f32 v1, v86, 0x3f6c835e, v84
	v_fma_f32 v53, v53, 2.0, -v85
	v_dual_sub_f32 v47, v32, v34 :: v_dual_fmamk_f32 v34, v58, 0x3f3504f3, v79
	v_fma_f32 v0, v35, 2.0, -v39
	v_fma_f32 v88, v52, 2.0, -v51
	v_fmac_f32_e32 v1, 0x3ec3ef15, v85
	s_delay_alu instid0(VALU_DEP_4) | instskip(SKIP_3) | instid1(VALU_DEP_3)
	v_fmac_f32_e32 v34, 0xbf3504f3, v80
	v_fma_f32 v49, v49, 2.0, -v83
	v_dual_sub_f32 v39, v87, v0 :: v_dual_fmamk_f32 v0, v85, 0x3f6c835e, v83
	v_fma_f32 v92, v36, 2.0, -v79
	v_fmamk_f32 v36, v53, 0xbec3ef15, v49
	v_dual_fmamk_f32 v89, v42, 0xbf3504f3, v40 :: v_dual_sub_f32 v38, v47, v38
	v_fma_f32 v93, v32, 2.0, -v47
	v_fmac_f32_e32 v0, 0xbec3ef15, v86
	s_delay_alu instid0(VALU_DEP_4) | instskip(NEXT) | instid1(VALU_DEP_4)
	v_fmac_f32_e32 v36, 0xbf6c835e, v45
	v_fmac_f32_e32 v89, 0xbf3504f3, v50
	v_fma_f32 v50, v37, 2.0, -v58
	v_fmamk_f32 v37, v45, 0xbec3ef15, v44
	v_fma_f32 v52, v83, 2.0, -v0
	s_delay_alu instid0(VALU_DEP_3)
	v_fmamk_f32 v42, v50, 0xbf3504f3, v92
	v_fma_f32 v56, v56, 2.0, -v91
	v_fmamk_f32 v35, v80, 0x3f3504f3, v91
	v_fmac_f32_e32 v37, 0x3f6c835e, v53
	v_fma_f32 v53, v84, 2.0, -v1
	v_dual_fmac_f32 v42, 0xbf3504f3, v59 :: v_dual_sub_f32 v57, v33, v57
	v_fmamk_f32 v32, v46, 0x3ec3ef15, v89
	v_fma_f32 v95, v40, 2.0, -v89
	v_fma_f32 v40, v87, 2.0, -v39
	;; [unrolled: 1-line block ×4, first 2 shown]
	v_fmamk_f32 v43, v59, 0xbf3504f3, v56
	v_add_f32_e32 v39, v57, v39
	v_dual_fmamk_f32 v33, v51, 0x3ec3ef15, v90 :: v_dual_sub_f32 v54, v93, v40
	v_dual_fmamk_f32 v40, v87, 0xbf6c835e, v95 :: v_dual_fmamk_f32 v41, v88, 0xbf6c835e, v96
	v_fmac_f32_e32 v35, 0x3f3504f3, v58
	v_sub_f32_e32 v55, v94, v48
	v_fmac_f32_e32 v43, 0x3f3504f3, v50
	v_fmac_f32_e32 v32, 0xbf6c835e, v51
	;; [unrolled: 1-line block ×5, first 2 shown]
	v_fma_f32 v58, v47, 2.0, -v38
	v_fma_f32 v59, v57, 2.0, -v39
	;; [unrolled: 1-line block ×14, first 2 shown]
	ds_store_b64 v121, v[79:80]
	ds_store_2addr_b64 v119, v[56:57], v[58:59] offset0:102 offset1:136
	ds_store_2addr_b64 v119, v[48:49], v[50:51] offset0:170 offset1:204
	;; [unrolled: 1-line block ×6, first 2 shown]
	ds_store_b64 v119, v[0:1] offset:4080
	ds_store_2addr_b64 v119, v[44:45], v[46:47] offset0:34 offset1:68
	global_wb scope:SCOPE_SE
	s_wait_dscnt 0x0
	s_barrier_signal -1
	s_barrier_wait -1
	global_inv scope:SCOPE_SE
	s_and_saveexec_b32 s2, vcc_lo
	s_cbranch_execz .LBB0_9
; %bb.8:
	global_load_b64 v[83:84], v100, s[8:9] offset:4352
	s_add_nc_u64 s[0:1], s[8:9], 0x1100
	s_clause 0xf
	global_load_b64 v[146:147], v100, s[0:1] offset:256
	global_load_b64 v[148:149], v100, s[0:1] offset:512
	;; [unrolled: 1-line block ×16, first 2 shown]
	ds_load_b64 v[85:86], v117
	v_add_nc_u32_e32 v179, 0xc00, v119
	s_wait_loadcnt_dscnt 0x1000
	v_mul_f32_e32 v87, v86, v84
	v_mul_f32_e32 v88, v85, v84
	s_delay_alu instid0(VALU_DEP_2) | instskip(NEXT) | instid1(VALU_DEP_2)
	v_fma_f32 v87, v85, v83, -v87
	v_fmac_f32_e32 v88, v86, v83
	ds_store_b64 v117, v[87:88]
	ds_load_2addr_b64 v[83:86], v119 offset0:32 offset1:64
	ds_load_2addr_b64 v[87:90], v119 offset0:96 offset1:128
	;; [unrolled: 1-line block ×8, first 2 shown]
	s_wait_loadcnt_dscnt 0xf07
	v_mul_f32_e32 v180, v84, v147
	s_wait_loadcnt 0xe
	v_dual_mul_f32 v178, v83, v147 :: v_dual_mul_f32 v181, v86, v149
	s_wait_loadcnt_dscnt 0xd06
	v_dual_mul_f32 v147, v85, v149 :: v_dual_mul_f32 v182, v88, v151
	s_wait_loadcnt 0xc
	v_mul_f32_e32 v183, v90, v153
	v_dual_mul_f32 v149, v87, v151 :: v_dual_fmac_f32 v178, v84, v146
	s_wait_loadcnt_dscnt 0xb05
	v_dual_mul_f32 v151, v89, v153 :: v_dual_mul_f32 v184, v92, v155
	v_mul_f32_e32 v153, v91, v155
	s_wait_loadcnt_dscnt 0x904
	v_dual_mul_f32 v185, v94, v157 :: v_dual_mul_f32 v186, v96, v159
	s_wait_loadcnt_dscnt 0x703
	v_dual_mul_f32 v155, v93, v157 :: v_dual_mul_f32 v188, v131, v163
	v_mul_f32_e32 v157, v95, v159
	s_wait_loadcnt_dscnt 0x502
	v_dual_mul_f32 v187, v98, v161 :: v_dual_mul_f32 v190, v135, v167
	;; [unrolled: 5-line block ×3, first 2 shown]
	v_mul_f32_e32 v163, v132, v165
	v_mul_f32_e32 v165, v134, v167
	;; [unrolled: 1-line block ×8, first 2 shown]
	s_wait_loadcnt 0x0
	v_mul_f32_e32 v195, v145, v177
	v_mul_f32_e32 v175, v144, v177
	v_fma_f32 v177, v83, v146, -v180
	v_fma_f32 v146, v85, v148, -v181
	v_fmac_f32_e32 v147, v86, v148
	v_fma_f32 v148, v87, v150, -v182
	v_fmac_f32_e32 v149, v88, v150
	;; [unrolled: 2-line block ×15, first 2 shown]
	ds_store_2addr_b64 v119, v[177:178], v[146:147] offset0:32 offset1:64
	ds_store_2addr_b64 v119, v[148:149], v[150:151] offset0:96 offset1:128
	;; [unrolled: 1-line block ×8, first 2 shown]
.LBB0_9:
	s_wait_alu 0xfffe
	s_or_b32 exec_lo, exec_lo, s2
	global_wb scope:SCOPE_SE
	s_wait_dscnt 0x0
	s_barrier_signal -1
	s_barrier_wait -1
	global_inv scope:SCOPE_SE
	s_and_saveexec_b32 s0, vcc_lo
	s_cbranch_execz .LBB0_11
; %bb.10:
	v_add_nc_u32_e32 v0, 0x400, v121
	v_add_nc_u32_e32 v1, 0x800, v121
	;; [unrolled: 1-line block ×3, first 2 shown]
	ds_load_b64 v[79:80], v117
	ds_load_2addr_b64 v[44:47], v121 offset0:32 offset1:64
	ds_load_2addr_b64 v[56:59], v121 offset0:96 offset1:128
	;; [unrolled: 1-line block ×8, first 2 shown]
.LBB0_11:
	s_wait_alu 0xfffe
	s_or_b32 exec_lo, exec_lo, s0
	global_wb scope:SCOPE_SE
	s_wait_dscnt 0x0
	s_barrier_signal -1
	s_barrier_wait -1
	global_inv scope:SCOPE_SE
	s_and_saveexec_b32 s0, vcc_lo
	s_cbranch_execz .LBB0_13
; %bb.12:
	v_dual_sub_f32 v135, v44, v2 :: v_dual_add_f32 v160, v3, v45
	v_dual_sub_f32 v132, v46, v0 :: v_dual_add_f32 v159, v1, v47
	s_delay_alu instid0(VALU_DEP_2) | instskip(SKIP_1) | instid1(VALU_DEP_3)
	v_dual_sub_f32 v130, v56, v34 :: v_dual_mul_f32 v165, 0xbf65296c, v135
	v_dual_add_f32 v158, v35, v57 :: v_dual_sub_f32 v131, v58, v32
	v_dual_mul_f32 v167, 0xbf4c4adb, v132 :: v_dual_sub_f32 v146, v45, v3
	s_delay_alu instid0(VALU_DEP_3) | instskip(NEXT) | instid1(VALU_DEP_2)
	v_dual_fmamk_f32 v81, v160, 0x3ee437d1, v165 :: v_dual_sub_f32 v134, v50, v36
	v_dual_sub_f32 v133, v48, v38 :: v_dual_fmamk_f32 v82, v159, 0xbf1a4643, v167
	v_dual_mul_f32 v169, 0x3e3c28d5, v130 :: v_dual_add_f32 v138, v2, v44
	s_delay_alu instid0(VALU_DEP_3) | instskip(SKIP_1) | instid1(VALU_DEP_3)
	v_dual_add_f32 v81, v80, v81 :: v_dual_mul_f32 v170, 0x3f763a35, v131
	v_dual_add_f32 v155, v33, v59 :: v_dual_add_f32 v156, v39, v49
	v_dual_fmamk_f32 v83, v158, 0xbf7ba420, v169 :: v_dual_sub_f32 v136, v52, v42
	s_delay_alu instid0(VALU_DEP_3) | instskip(NEXT) | instid1(VALU_DEP_3)
	v_dual_add_f32 v81, v82, v81 :: v_dual_mul_f32 v172, 0xbeb8f4ab, v134
	v_dual_add_f32 v157, v37, v51 :: v_dual_fmamk_f32 v82, v155, 0xbe8c1d8e, v170
	v_dual_mul_f32 v171, 0x3f2c7751, v133 :: v_dual_sub_f32 v148, v57, v35
	v_sub_f32_e32 v147, v47, v1
	s_delay_alu instid0(VALU_DEP_4) | instskip(SKIP_1) | instid1(VALU_DEP_4)
	v_add_f32_e32 v81, v83, v81
	v_mul_f32_e32 v175, 0xbf65296c, v146
	v_dual_fmamk_f32 v83, v156, 0x3f3d2fb0, v171 :: v_dual_add_f32 v140, v34, v56
	v_dual_add_f32 v139, v0, v46 :: v_dual_add_f32 v152, v43, v53
	s_delay_alu instid0(VALU_DEP_4)
	v_dual_mul_f32 v162, 0xbf4c4adb, v147 :: v_dual_add_f32 v81, v82, v81
	v_mul_f32_e32 v166, 0xbf7ee86f, v136
	v_fma_f32 v84, 0x3ee437d1, v138, -v175
	v_fmamk_f32 v82, v157, 0x3f6eb680, v172
	v_dual_mul_f32 v163, 0x3e3c28d5, v148 :: v_dual_sub_f32 v150, v49, v39
	v_add_f32_e32 v81, v83, v81
	v_fma_f32 v83, 0xbf1a4643, v139, -v162
	v_add_f32_e32 v84, v79, v84
	v_dual_sub_f32 v149, v59, v33 :: v_dual_add_f32 v142, v38, v48
	s_delay_alu instid0(VALU_DEP_4) | instskip(NEXT) | instid1(VALU_DEP_3)
	v_add_f32_e32 v81, v82, v81
	v_dual_add_f32 v141, v32, v58 :: v_dual_add_f32 v82, v83, v84
	s_delay_alu instid0(VALU_DEP_3) | instskip(SKIP_4) | instid1(VALU_DEP_4)
	v_mul_f32_e32 v164, 0x3f763a35, v149
	v_fma_f32 v83, 0xbf7ba420, v140, -v163
	v_dual_fmamk_f32 v84, v152, 0x3dbcf732, v166 :: v_dual_sub_f32 v137, v54, v40
	v_dual_mul_f32 v168, 0x3f2c7751, v150 :: v_dual_sub_f32 v151, v51, v37
	v_add_f32_e32 v144, v36, v50
	v_add_f32_e32 v82, v83, v82
	v_fma_f32 v83, 0xbe8c1d8e, v141, -v164
	v_add_f32_e32 v81, v84, v81
	v_mul_f32_e32 v173, 0xbf06c442, v137
	v_dual_mul_f32 v176, 0xbeb8f4ab, v151 :: v_dual_add_f32 v143, v42, v52
	s_delay_alu instid0(VALU_DEP_4)
	v_add_f32_e32 v82, v83, v82
	v_fma_f32 v83, 0x3f3d2fb0, v142, -v168
	v_sub_f32_e32 v154, v53, v43
	v_mul_f32_e32 v185, 0xbf7ee86f, v135
	v_add_f32_e32 v153, v41, v55
	v_fma_f32 v84, 0x3f6eb680, v144, -v176
	v_add_f32_e32 v82, v83, v82
	v_mul_f32_e32 v174, 0xbf7ee86f, v154
	v_fmamk_f32 v83, v160, 0x3dbcf732, v185
	v_mul_f32_e32 v186, 0xbe3c28d5, v132
	v_dual_mul_f32 v182, 0x3eb8f4ab, v131 :: v_dual_add_f32 v145, v40, v54
	v_add_f32_e32 v84, v84, v82
	s_delay_alu instid0(VALU_DEP_4) | instskip(NEXT) | instid1(VALU_DEP_4)
	v_add_f32_e32 v83, v80, v83
	v_fmamk_f32 v85, v159, 0xbf7ba420, v186
	v_fma_f32 v87, 0x3dbcf732, v143, -v174
	v_fmamk_f32 v86, v153, 0xbf59a7d5, v173
	v_mul_f32_e32 v181, 0x3f763a35, v130
	v_mul_f32_e32 v98, 0xbf763a35, v135
	v_dual_add_f32 v83, v85, v83 :: v_dual_mul_f32 v180, 0xbf65296c, v133
	s_delay_alu instid0(VALU_DEP_4) | instskip(NEXT) | instid1(VALU_DEP_4)
	v_add_f32_e32 v82, v86, v81
	v_fmamk_f32 v85, v158, 0xbe8c1d8e, v181
	v_add_f32_e32 v81, v87, v84
	v_fmamk_f32 v84, v155, 0x3f6eb680, v182
	v_dual_sub_f32 v161, v55, v41 :: v_dual_mul_f32 v190, 0xbf7ee86f, v146
	s_delay_alu instid0(VALU_DEP_4) | instskip(SKIP_2) | instid1(VALU_DEP_4)
	v_dual_add_f32 v83, v85, v83 :: v_dual_mul_f32 v178, 0xbf06c442, v134
	v_mul_f32_e32 v191, 0xbe3c28d5, v147
	v_mul_f32_e32 v179, 0x3f4c4adb, v136
	v_fma_f32 v85, 0x3dbcf732, v138, -v190
	s_delay_alu instid0(VALU_DEP_4) | instskip(SKIP_4) | instid1(VALU_DEP_4)
	v_add_f32_e32 v83, v84, v83
	v_fmamk_f32 v84, v156, 0x3ee437d1, v180
	v_fma_f32 v86, 0xbf7ba420, v139, -v191
	v_mul_f32_e32 v183, 0x3f763a35, v148
	v_add_f32_e32 v85, v79, v85
	v_dual_mul_f32 v184, 0x3eb8f4ab, v149 :: v_dual_add_f32 v83, v84, v83
	v_fmamk_f32 v84, v157, 0xbf59a7d5, v178
	s_delay_alu instid0(VALU_DEP_3) | instskip(SKIP_1) | instid1(VALU_DEP_3)
	v_dual_mul_f32 v192, 0xbf06c442, v151 :: v_dual_add_f32 v85, v86, v85
	v_fma_f32 v86, 0xbe8c1d8e, v140, -v183
	v_dual_mul_f32 v188, 0x3f2c7751, v137 :: v_dual_add_f32 v83, v84, v83
	v_fmamk_f32 v84, v152, 0xbf1a4643, v179
	v_mul_f32_e32 v195, 0x3f06c442, v132
	v_mul_f32_e32 v187, 0x3f4c4adb, v154
	s_delay_alu instid0(VALU_DEP_4)
	v_fmamk_f32 v88, v153, 0x3f3d2fb0, v188
	v_mul_f32_e32 v193, 0x3f2c7751, v161
	v_dual_add_f32 v83, v84, v83 :: v_dual_add_f32 v84, v86, v85
	v_fma_f32 v85, 0x3f6eb680, v141, -v184
	v_mul_f32_e32 v177, 0xbf06c442, v161
	v_fma_f32 v89, 0xbf1a4643, v143, -v187
	v_dual_mul_f32 v97, 0xbf65296c, v131 :: v_dual_mul_f32 v202, 0xbf65296c, v149
	s_delay_alu instid0(VALU_DEP_4) | instskip(NEXT) | instid1(VALU_DEP_4)
	v_add_f32_e32 v84, v85, v84
	v_fma_f32 v87, 0xbf59a7d5, v145, -v177
	v_mul_f32_e32 v189, 0xbf65296c, v150
	v_mul_f32_e32 v96, 0x3f763a35, v132
	;; [unrolled: 1-line block ×4, first 2 shown]
	v_add_f32_e32 v81, v87, v81
	v_fma_f32 v85, 0x3ee437d1, v142, -v189
	v_fmamk_f32 v87, v159, 0xbf59a7d5, v195
	v_mul_f32_e32 v207, 0xbeb8f4ab, v154
	v_dual_mul_f32 v204, 0xbf4c4adb, v137 :: v_dual_mul_f32 v95, 0xbf4c4adb, v135
	v_mul_f32_e32 v210, 0xbf4c4adb, v146
	v_add_f32_e32 v84, v85, v84
	v_fma_f32 v85, 0xbf59a7d5, v144, -v192
	v_fma_f32 v91, 0x3f6eb680, v143, -v207
	v_fmamk_f32 v90, v153, 0xbf1a4643, v204
	v_dual_mul_f32 v203, 0xbe3c28d5, v150 :: v_dual_mul_f32 v214, 0xbe3c28d5, v136
	s_delay_alu instid0(VALU_DEP_4) | instskip(SKIP_3) | instid1(VALU_DEP_4)
	v_dual_add_f32 v85, v85, v84 :: v_dual_fmamk_f32 v86, v160, 0xbe8c1d8e, v98
	v_mul_f32_e32 v196, 0x3f2c7751, v130
	v_add_f32_e32 v84, v88, v83
	v_fma_f32 v88, 0xbf59a7d5, v139, -v199
	v_dual_add_f32 v83, v89, v85 :: v_dual_add_f32 v86, v80, v86
	v_fma_f32 v89, 0x3f3d2fb0, v145, -v193
	v_mul_f32_e32 v205, 0x3f7ee86f, v151
	v_mul_f32_e32 v212, 0xbf4c4adb, v161
	;; [unrolled: 1-line block ×3, first 2 shown]
	v_dual_add_f32 v86, v87, v86 :: v_dual_fmamk_f32 v87, v158, 0x3f3d2fb0, v196
	v_add_f32_e32 v83, v89, v83
	v_fmamk_f32 v89, v159, 0xbe8c1d8e, v96
	v_mul_f32_e32 v208, 0xbf06c442, v131
	v_dual_mul_f32 v216, 0xbf06c442, v149 :: v_dual_mul_f32 v93, 0xbf06c442, v135
	v_add_f32_e32 v86, v87, v86
	v_fmamk_f32 v87, v155, 0x3ee437d1, v97
	v_mul_f32_e32 v209, 0x3f7ee86f, v133
	v_mul_f32_e32 v213, 0x3f763a35, v147
	;; [unrolled: 1-line block ×4, first 2 shown]
	v_add_f32_e32 v85, v87, v86
	v_fma_f32 v87, 0xbe8c1d8e, v138, -v197
	v_mul_f32_e32 v194, 0xbe3c28d5, v133
	v_fmamk_f32 v92, v153, 0x3ee437d1, v218
	v_mul_f32_e32 v211, 0xbf2c7751, v134
	v_dual_mul_f32 v215, 0xbeb8f4ab, v148 :: v_dual_mul_f32 v224, 0xbeb8f4ab, v133
	s_delay_alu instid0(VALU_DEP_4) | instskip(SKIP_3) | instid1(VALU_DEP_4)
	v_dual_add_f32 v87, v79, v87 :: v_dual_fmamk_f32 v86, v156, 0xbf7ba420, v194
	v_mul_f32_e32 v198, 0x3f7ee86f, v134
	v_fma_f32 v223, 0xbf7ba420, v143, -v221
	v_mul_f32_e32 v217, 0x3f7ee86f, v150
	v_add_f32_e32 v87, v88, v87
	s_delay_alu instid0(VALU_DEP_4) | instskip(SKIP_3) | instid1(VALU_DEP_4)
	v_dual_add_f32 v85, v86, v85 :: v_dual_fmamk_f32 v86, v157, 0x3dbcf732, v198
	v_mul_f32_e32 v200, 0xbeb8f4ab, v136
	v_mul_f32_e32 v244, 0x3eb8f4ab, v147
	v_mul_f32_e32 v219, 0xbf2c7751, v151
	v_dual_mul_f32 v220, 0xbf7ee86f, v130 :: v_dual_add_f32 v85, v86, v85
	s_delay_alu instid0(VALU_DEP_4) | instskip(NEXT) | instid1(VALU_DEP_4)
	v_fmamk_f32 v86, v152, 0x3f6eb680, v200
	v_fma_f32 v246, 0x3f6eb680, v139, -v244
	v_mul_f32_e32 v94, 0x3f65296c, v132
	v_mul_f32_e32 v234, 0x3eb8f4ab, v132
	s_delay_alu instid0(VALU_DEP_4) | instskip(SKIP_2) | instid1(VALU_DEP_4)
	v_dual_mul_f32 v222, 0x3f4c4adb, v131 :: v_dual_add_f32 v85, v86, v85
	v_mul_f32_e32 v201, 0x3f2c7751, v148
	v_dual_mul_f32 v226, 0x3f65296c, v161 :: v_dual_mul_f32 v227, 0x3f65296c, v147
	v_fmamk_f32 v236, v159, 0x3f6eb680, v234
	v_mul_f32_e32 v225, 0xbe3c28d5, v134
	s_delay_alu instid0(VALU_DEP_4) | instskip(NEXT) | instid1(VALU_DEP_4)
	v_fma_f32 v88, 0x3f3d2fb0, v140, -v201
	v_fma_f32 v230, 0x3ee437d1, v145, -v226
	v_dual_mul_f32 v238, 0x3f2c7751, v154 :: v_dual_mul_f32 v239, 0x3f2c7751, v131
	s_delay_alu instid0(VALU_DEP_3) | instskip(SKIP_2) | instid1(VALU_DEP_4)
	v_dual_mul_f32 v233, 0xbf763a35, v137 :: v_dual_add_f32 v86, v88, v87
	v_fma_f32 v87, 0x3ee437d1, v141, -v202
	v_fmamk_f32 v88, v160, 0xbf1a4643, v95
	v_fma_f32 v241, 0x3f3d2fb0, v143, -v238
	v_fmac_f32_e32 v244, 0x3f6eb680, v139
	v_fmamk_f32 v240, v153, 0xbe8c1d8e, v233
	v_add_f32_e32 v86, v87, v86
	v_fma_f32 v87, 0xbf7ba420, v142, -v203
	v_add_f32_e32 v88, v80, v88
	v_mul_f32_e32 v229, 0xbf7ee86f, v148
	v_mul_f32_e32 v237, 0xbf06c442, v130
	v_mul_f32_e32 v242, 0xbf4c4adb, v133
	v_add_f32_e32 v86, v87, v86
	v_fma_f32 v87, 0x3dbcf732, v144, -v205
	v_add_f32_e32 v88, v89, v88
	v_mul_f32_e32 v232, 0xbeb8f4ab, v150
	v_mul_f32_e32 v235, 0xbe3c28d5, v151
	v_fma_f32 v95, 0xbf1a4643, v160, -v95
	v_dual_add_f32 v87, v87, v86 :: v_dual_add_f32 v86, v90, v85
	v_fma_f32 v90, 0xbe8c1d8e, v139, -v213
	v_mul_f32_e32 v249, 0x3f2c7751, v149
	v_fma_f32 v96, 0xbe8c1d8e, v159, -v96
	s_delay_alu instid0(VALU_DEP_4)
	v_add_f32_e32 v85, v91, v87
	v_fma_f32 v91, 0xbf1a4643, v145, -v212
	v_fma_f32 v194, 0xbf7ba420, v156, -v194
	;; [unrolled: 1-line block ×5, first 2 shown]
	v_add_f32_e32 v85, v91, v85
	v_fmamk_f32 v91, v159, 0x3ee437d1, v94
	v_dual_fmamk_f32 v89, v158, 0x3f6eb680, v206 :: v_dual_add_f32 v98, v80, v98
	v_fma_f32 v97, 0x3ee437d1, v155, -v97
	v_fma_f32 v185, 0x3dbcf732, v160, -v185
	v_dual_fmac_f32 v226, 0x3ee437d1, v145 :: v_dual_fmac_f32 v189, 0x3ee437d1, v142
	s_delay_alu instid0(VALU_DEP_4) | instskip(SKIP_3) | instid1(VALU_DEP_4)
	v_dual_add_f32 v88, v89, v88 :: v_dual_fmamk_f32 v89, v155, 0xbf59a7d5, v208
	v_dual_fmac_f32 v202, 0x3ee437d1, v141 :: v_dual_fmac_f32 v175, 0x3ee437d1, v138
	v_fmac_f32_e32 v184, 0x3f6eb680, v141
	v_fma_f32 v165, 0x3ee437d1, v160, -v165
	v_add_f32_e32 v87, v89, v88
	v_fma_f32 v89, 0xbf1a4643, v138, -v210
	v_fmac_f32_e32 v210, 0xbf1a4643, v138
	v_mul_f32_e32 v250, 0x3f65296c, v151
	v_fmac_f32_e32 v187, 0xbf1a4643, v143
	v_fma_f32 v181, 0xbe8c1d8e, v158, -v181
	v_dual_add_f32 v89, v79, v89 :: v_dual_fmamk_f32 v88, v156, 0x3dbcf732, v209
	v_fma_f32 v208, 0xbf59a7d5, v155, -v208
	v_fma_f32 v182, 0x3f6eb680, v155, -v182
	;; [unrolled: 1-line block ×3, first 2 shown]
	s_delay_alu instid0(VALU_DEP_4) | instskip(SKIP_4) | instid1(VALU_DEP_4)
	v_add_f32_e32 v89, v90, v89
	v_dual_add_f32 v87, v88, v87 :: v_dual_fmamk_f32 v88, v157, 0x3f3d2fb0, v211
	v_fma_f32 v90, 0x3f6eb680, v140, -v215
	v_fma_f32 v180, 0x3ee437d1, v156, -v180
	;; [unrolled: 1-line block ×3, first 2 shown]
	v_dual_fmac_f32 v192, 0xbf59a7d5, v144 :: v_dual_add_f32 v87, v88, v87
	v_fmamk_f32 v88, v152, 0xbf7ba420, v214
	v_fma_f32 v166, 0x3dbcf732, v152, -v166
	v_fmac_f32_e32 v176, 0x3f6eb680, v144
	v_fma_f32 v179, 0xbf1a4643, v152, -v179
	v_dual_fmac_f32 v174, 0x3dbcf732, v143 :: v_dual_add_f32 v45, v45, v80
	v_dual_add_f32 v87, v88, v87 :: v_dual_add_f32 v88, v90, v89
	v_fma_f32 v89, 0xbf59a7d5, v141, -v216
	v_fmamk_f32 v90, v160, 0xbf59a7d5, v93
	v_fma_f32 v93, 0xbf59a7d5, v160, -v93
	v_fmac_f32_e32 v212, 0xbf1a4643, v145
	v_add_f32_e32 v44, v44, v79
	v_add_f32_e32 v88, v89, v88
	v_fma_f32 v89, 0x3dbcf732, v142, -v217
	v_add_f32_e32 v90, v80, v90
	s_delay_alu instid0(VALU_DEP_4) | instskip(SKIP_1) | instid1(VALU_DEP_4)
	v_dual_add_f32 v93, v80, v93 :: v_dual_add_f32 v44, v46, v44
	v_mul_f32_e32 v46, 0xbeb8f4ab, v146
	v_add_f32_e32 v88, v89, v88
	v_fma_f32 v89, 0x3f3d2fb0, v144, -v219
	v_dual_add_f32 v90, v91, v90 :: v_dual_fmamk_f32 v91, v158, 0x3dbcf732, v220
	v_add_f32_e32 v44, v56, v44
	s_delay_alu instid0(VALU_DEP_3) | instskip(SKIP_1) | instid1(VALU_DEP_4)
	v_dual_fmamk_f32 v56, v138, 0x3f6eb680, v46 :: v_dual_add_f32 v89, v89, v88
	v_add_f32_e32 v88, v92, v87
	v_add_f32_e32 v90, v91, v90
	v_fmamk_f32 v91, v155, 0xbf1a4643, v222
	v_fma_f32 v92, 0x3ee437d1, v139, -v227
	v_dual_add_f32 v87, v223, v89 :: v_dual_add_f32 v44, v58, v44
	v_add_f32_e32 v56, v79, v56
	s_delay_alu instid0(VALU_DEP_4) | instskip(NEXT) | instid1(VALU_DEP_3)
	v_dual_add_f32 v89, v91, v90 :: v_dual_fmamk_f32 v90, v156, 0x3f6eb680, v224
	v_add_f32_e32 v87, v230, v87
	v_mul_f32_e32 v230, 0xbe3c28d5, v135
	v_fma_f32 v224, 0x3f6eb680, v156, -v224
	s_delay_alu instid0(VALU_DEP_4) | instskip(SKIP_2) | instid1(VALU_DEP_3)
	v_dual_add_f32 v44, v48, v44 :: v_dual_add_f32 v89, v90, v89
	v_fmamk_f32 v90, v157, 0xbf7ba420, v225
	v_fma_f32 v220, 0x3dbcf732, v158, -v220
	v_dual_fmac_f32 v227, 0x3ee437d1, v139 :: v_dual_add_f32 v44, v50, v44
	v_add_f32_e32 v95, v80, v95
	s_delay_alu instid0(VALU_DEP_4) | instskip(SKIP_2) | instid1(VALU_DEP_4)
	v_dual_add_f32 v89, v90, v89 :: v_dual_mul_f32 v228, 0x3f2c7751, v136
	v_add_f32_e32 v195, v195, v98
	v_fmac_f32_e32 v213, 0xbe8c1d8e, v139
	v_add_f32_e32 v95, v96, v95
	v_fma_f32 v96, 0x3f6eb680, v158, -v206
	v_fmamk_f32 v90, v152, 0x3f3d2fb0, v228
	v_fmac_f32_e32 v215, 0x3f6eb680, v140
	v_fmac_f32_e32 v197, 0xbe8c1d8e, v138
	v_add_f32_e32 v195, v196, v195
	v_add_f32_e32 v95, v96, v95
	;; [unrolled: 1-line block ×3, first 2 shown]
	v_mul_f32_e32 v223, 0xbf06c442, v146
	v_fmac_f32_e32 v199, 0xbf59a7d5, v139
	v_add_f32_e32 v97, v97, v195
	v_add_f32_e32 v95, v208, v95
	v_fma_f32 v208, 0x3dbcf732, v156, -v209
	v_fma_f32 v91, 0xbf59a7d5, v138, -v223
	v_add_f32_e32 v209, v79, v210
	v_add_f32_e32 v97, v194, v97
	v_fma_f32 v194, 0x3dbcf732, v157, -v198
	v_add_f32_e32 v208, v208, v95
	v_add_f32_e32 v91, v79, v91
	v_fmac_f32_e32 v221, 0xbf7ba420, v143
	v_fma_f32 v210, 0x3f3d2fb0, v157, -v211
	v_add_f32_e32 v197, v79, v197
	v_dual_add_f32 v194, v194, v97 :: v_dual_fmac_f32 v207, 0x3f6eb680, v143
	v_add_f32_e32 v91, v92, v91
	v_fma_f32 v92, 0x3dbcf732, v140, -v229
	v_fmac_f32_e32 v216, 0xbf59a7d5, v141
	v_fmac_f32_e32 v201, 0x3f3d2fb0, v140
	v_add_f32_e32 v185, v80, v185
	s_delay_alu instid0(VALU_DEP_4)
	v_dual_fmac_f32 v205, 0x3dbcf732, v144 :: v_dual_add_f32 v90, v92, v91
	v_fmamk_f32 v92, v160, 0xbf7ba420, v230
	v_fma_f32 v230, 0xbf7ba420, v160, -v230
	v_fmac_f32_e32 v217, 0x3dbcf732, v142
	v_fmac_f32_e32 v183, 0xbe8c1d8e, v140
	v_add_f32_e32 v165, v80, v165
	v_add_f32_e32 v92, v80, v92
	;; [unrolled: 1-line block ×3, first 2 shown]
	v_fmac_f32_e32 v190, 0x3dbcf732, v138
	v_fmac_f32_e32 v203, 0xbf7ba420, v142
	s_delay_alu instid0(VALU_DEP_4) | instskip(SKIP_4) | instid1(VALU_DEP_4)
	v_dual_add_f32 v165, v167, v165 :: v_dual_add_f32 v92, v236, v92
	v_fmamk_f32 v236, v158, 0xbf59a7d5, v237
	v_fma_f32 v167, 0xbf7ba420, v158, -v169
	v_dual_add_f32 v190, v79, v190 :: v_dual_fmac_f32 v191, 0xbf7ba420, v139
	v_fmac_f32_e32 v163, 0xbf7ba420, v140
	v_add_f32_e32 v92, v236, v92
	v_fmamk_f32 v236, v155, 0x3f3d2fb0, v239
	v_add_f32_e32 v165, v167, v165
	v_fma_f32 v167, 0xbe8c1d8e, v155, -v170
	v_dual_add_f32 v190, v191, v190 :: v_dual_fmac_f32 v193, 0x3f3d2fb0, v145
	s_delay_alu instid0(VALU_DEP_4) | instskip(SKIP_4) | instid1(VALU_DEP_4)
	v_add_f32_e32 v92, v236, v92
	v_fmamk_f32 v236, v156, 0xbf1a4643, v242
	v_mul_f32_e32 v231, 0x3f4c4adb, v149
	v_add_f32_e32 v165, v167, v165
	v_fma_f32 v167, 0x3f3d2fb0, v156, -v171
	v_dual_add_f32 v171, v79, v175 :: v_dual_add_f32 v92, v236, v92
	s_delay_alu instid0(VALU_DEP_4) | instskip(SKIP_1) | instid1(VALU_DEP_4)
	v_fma_f32 v91, 0xbf1a4643, v141, -v231
	v_dual_fmac_f32 v231, 0xbf1a4643, v141 :: v_dual_fmac_f32 v162, 0xbf1a4643, v139
	v_add_f32_e32 v165, v167, v165
	v_fma_f32 v167, 0x3f6eb680, v157, -v172
	s_delay_alu instid0(VALU_DEP_4) | instskip(SKIP_2) | instid1(VALU_DEP_4)
	v_add_f32_e32 v90, v91, v90
	v_fma_f32 v91, 0x3f6eb680, v142, -v232
	v_dual_fmac_f32 v219, 0x3f3d2fb0, v144 :: v_dual_fmac_f32 v238, 0x3f3d2fb0, v143
	v_dual_mul_f32 v172, 0x3f3d2fb0, v160 :: v_dual_add_f32 v165, v167, v165
	s_delay_alu instid0(VALU_DEP_3) | instskip(SKIP_2) | instid1(VALU_DEP_4)
	v_add_f32_e32 v90, v91, v90
	v_fma_f32 v91, 0xbf7ba420, v144, -v235
	v_dual_fmac_f32 v229, 0x3dbcf732, v140 :: v_dual_add_f32 v162, v162, v171
	v_fmamk_f32 v167, v135, 0x3f2c7751, v172
	s_delay_alu instid0(VALU_DEP_3) | instskip(SKIP_3) | instid1(VALU_DEP_4)
	v_dual_fmac_f32 v164, 0xbe8c1d8e, v141 :: v_dual_add_f32 v91, v91, v90
	v_dual_add_f32 v90, v240, v89 :: v_dual_fmac_f32 v223, 0xbf59a7d5, v138
	v_mul_f32_e32 v240, 0x3f65296c, v134
	v_dual_add_f32 v162, v163, v162 :: v_dual_add_f32 v163, v166, v165
	v_add_f32_e32 v89, v241, v91
	v_mul_f32_e32 v91, 0xbe3c28d5, v146
	v_mul_f32_e32 v241, 0xbf763a35, v161
	v_dual_add_f32 v223, v79, v223 :: v_dual_fmamk_f32 v236, v157, 0x3ee437d1, v240
	v_add_f32_e32 v165, v80, v167
	s_delay_alu instid0(VALU_DEP_4) | instskip(NEXT) | instid1(VALU_DEP_4)
	v_fma_f32 v243, 0xbf7ba420, v138, -v91
	v_fma_f32 v248, 0xbe8c1d8e, v145, -v241
	s_delay_alu instid0(VALU_DEP_4) | instskip(SKIP_1) | instid1(VALU_DEP_4)
	v_dual_add_f32 v223, v227, v223 :: v_dual_add_f32 v92, v236, v92
	v_fmac_f32_e32 v241, 0xbe8c1d8e, v145
	v_dual_add_f32 v243, v79, v243 :: v_dual_fmac_f32 v232, 0x3f6eb680, v142
	s_delay_alu instid0(VALU_DEP_4) | instskip(SKIP_2) | instid1(VALU_DEP_4)
	v_add_f32_e32 v89, v248, v89
	v_add_f32_e32 v162, v164, v162
	v_fma_f32 v164, 0xbf59a7d5, v153, -v173
	v_add_f32_e32 v243, v246, v243
	v_fma_f32 v234, 0x3f6eb680, v159, -v234
	v_mul_f32_e32 v245, 0xbf763a35, v136
	s_delay_alu instid0(VALU_DEP_4) | instskip(NEXT) | instid1(VALU_DEP_3)
	v_dual_fmac_f32 v168, 0x3f3d2fb0, v142 :: v_dual_add_f32 v163, v164, v163
	v_dual_mul_f32 v173, 0xbf7ba420, v155 :: v_dual_add_f32 v230, v234, v230
	v_mul_f32_e32 v247, 0xbf06c442, v148
	s_delay_alu instid0(VALU_DEP_4) | instskip(NEXT) | instid1(VALU_DEP_4)
	v_fmamk_f32 v236, v152, 0xbe8c1d8e, v245
	v_add_f32_e32 v162, v168, v162
	v_mul_f32_e32 v168, 0xbf2c7751, v146
	v_mul_f32_e32 v171, 0x3dbcf732, v159
	v_fma_f32 v246, 0xbf59a7d5, v140, -v247
	v_add_f32_e32 v92, v236, v92
	v_fmac_f32_e32 v235, 0xbf7ba420, v144
	v_mul_f32_e32 v160, 0x3f6eb680, v160
	v_mul_f32_e32 v146, 0xbf59a7d5, v152
	v_add_f32_e32 v236, v246, v243
	v_fma_f32 v234, 0xbf59a7d5, v158, -v237
	v_mul_f32_e32 v246, 0xbf4c4adb, v150
	v_fma_f32 v243, 0x3f3d2fb0, v141, -v249
	v_fma_f32 v237, 0x3ee437d1, v144, -v250
	v_fmac_f32_e32 v250, 0x3ee437d1, v144
	v_add_f32_e32 v230, v234, v230
	v_fma_f32 v234, 0x3f3d2fb0, v155, -v239
	v_add_f32_e32 v236, v243, v236
	v_fma_f32 v243, 0xbf1a4643, v142, -v246
	v_fmac_f32_e32 v246, 0xbf1a4643, v142
	s_delay_alu instid0(VALU_DEP_4) | instskip(SKIP_3) | instid1(VALU_DEP_3)
	v_dual_fmac_f32 v247, 0xbf59a7d5, v140 :: v_dual_add_f32 v230, v234, v230
	v_fma_f32 v234, 0xbf1a4643, v156, -v242
	v_mul_f32_e32 v242, 0x3f7ee86f, v161
	v_dual_add_f32 v236, v243, v236 :: v_dual_fmac_f32 v91, 0xbf7ba420, v138
	v_dual_fmac_f32 v249, 0x3f3d2fb0, v141 :: v_dual_add_f32 v230, v234, v230
	v_fma_f32 v234, 0x3ee437d1, v157, -v240
	s_delay_alu instid0(VALU_DEP_3) | instskip(NEXT) | instid1(VALU_DEP_4)
	v_dual_add_f32 v236, v237, v236 :: v_dual_mul_f32 v237, 0xbf763a35, v154
	v_dual_add_f32 v91, v79, v91 :: v_dual_mul_f32 v50, 0xbf7ee86f, v149
	v_add_f32_e32 v162, v176, v162
	v_mul_f32_e32 v176, 0xbf7ee86f, v147
	s_delay_alu instid0(VALU_DEP_4) | instskip(NEXT) | instid1(VALU_DEP_4)
	v_fma_f32 v239, 0xbe8c1d8e, v143, -v237
	v_add_f32_e32 v91, v244, v91
	v_fmamk_f32 v48, v136, 0x3f06c442, v146
	v_add_f32_e32 v162, v174, v162
	v_fmamk_f32 v174, v138, 0x3f3d2fb0, v168
	v_add_f32_e32 v236, v239, v236
	v_fma_f32 v239, 0x3dbcf732, v145, -v242
	v_add_f32_e32 v240, v247, v91
	v_dual_add_f32 v230, v234, v230 :: v_dual_fmac_f32 v237, 0xbe8c1d8e, v143
	v_fma_f32 v234, 0xbe8c1d8e, v152, -v245
	s_delay_alu instid0(VALU_DEP_4) | instskip(NEXT) | instid1(VALU_DEP_4)
	v_add_f32_e32 v91, v239, v236
	v_add_f32_e32 v236, v249, v240
	v_fmac_f32_e32 v242, 0x3dbcf732, v145
	v_mul_f32_e32 v248, 0x3f7ee86f, v137
	v_add_f32_e32 v230, v234, v230
	v_fma_f32 v239, 0x3ee437d1, v159, -v94
	v_dual_add_f32 v236, v246, v236 :: v_dual_fmac_f32 v177, 0xbf59a7d5, v145
	s_delay_alu instid0(VALU_DEP_4) | instskip(SKIP_1) | instid1(VALU_DEP_4)
	v_fma_f32 v234, 0x3dbcf732, v153, -v248
	v_mul_f32_e32 v175, 0xbe8c1d8e, v157
	v_add_f32_e32 v93, v239, v93
	s_delay_alu instid0(VALU_DEP_3) | instskip(NEXT) | instid1(VALU_DEP_2)
	v_dual_add_f32 v45, v47, v45 :: v_dual_add_f32 v94, v234, v230
	v_dual_add_f32 v230, v250, v236 :: v_dual_add_f32 v93, v220, v93
	v_fma_f32 v220, 0xbf1a4643, v155, -v222
	s_delay_alu instid0(VALU_DEP_3) | instskip(NEXT) | instid1(VALU_DEP_3)
	v_add_f32_e32 v45, v57, v45
	v_dual_mul_f32 v57, 0xbf2c7751, v147 :: v_dual_add_f32 v222, v237, v230
	s_delay_alu instid0(VALU_DEP_3) | instskip(NEXT) | instid1(VALU_DEP_3)
	v_add_f32_e32 v220, v220, v93
	v_add_f32_e32 v45, v59, v45
	v_mul_f32_e32 v59, 0xbf65296c, v148
	s_delay_alu instid0(VALU_DEP_4) | instskip(NEXT) | instid1(VALU_DEP_4)
	v_add_f32_e32 v93, v242, v222
	v_dual_fmamk_f32 v251, v153, 0x3dbcf732, v248 :: v_dual_add_f32 v220, v224, v220
	v_add_f32_e32 v222, v229, v223
	v_fma_f32 v223, 0xbf7ba420, v157, -v225
	s_delay_alu instid0(VALU_DEP_3) | instskip(SKIP_1) | instid1(VALU_DEP_4)
	v_dual_mul_f32 v157, 0xbf1a4643, v157 :: v_dual_add_f32 v92, v251, v92
	v_fmamk_f32 v58, v139, 0x3f3d2fb0, v57
	v_add_f32_e32 v222, v231, v222
	s_delay_alu instid0(VALU_DEP_4) | instskip(SKIP_2) | instid1(VALU_DEP_4)
	v_add_f32_e32 v220, v223, v220
	v_fma_f32 v223, 0x3f3d2fb0, v152, -v228
	v_add_f32_e32 v45, v49, v45
	v_dual_add_f32 v49, v58, v56 :: v_dual_add_f32 v206, v232, v222
	v_fma_f32 v222, 0xbe8c1d8e, v153, -v233
	s_delay_alu instid0(VALU_DEP_4) | instskip(NEXT) | instid1(VALU_DEP_4)
	v_add_f32_e32 v220, v223, v220
	v_dual_add_f32 v45, v51, v45 :: v_dual_fmamk_f32 v56, v140, 0x3ee437d1, v59
	s_delay_alu instid0(VALU_DEP_4) | instskip(SKIP_1) | instid1(VALU_DEP_3)
	v_add_f32_e32 v206, v235, v206
	v_mul_f32_e32 v51, 0xbf763a35, v150
	v_add_f32_e32 v45, v53, v45
	s_delay_alu instid0(VALU_DEP_3) | instskip(NEXT) | instid1(VALU_DEP_2)
	v_dual_mul_f32 v53, 0xbf4c4adb, v151 :: v_dual_add_f32 v206, v238, v206
	v_add_f32_e32 v45, v55, v45
	s_delay_alu instid0(VALU_DEP_2) | instskip(SKIP_2) | instid1(VALU_DEP_2)
	v_add_f32_e32 v95, v241, v206
	v_add_f32_e32 v206, v213, v209
	v_fma_f32 v209, 0xbf7ba420, v152, -v214
	v_dual_add_f32 v41, v41, v45 :: v_dual_add_f32 v206, v215, v206
	s_delay_alu instid0(VALU_DEP_1) | instskip(SKIP_1) | instid1(VALU_DEP_2)
	v_add_f32_e32 v41, v43, v41
	v_mul_f32_e32 v43, 0xbf06c442, v154
	v_dual_add_f32 v206, v216, v206 :: v_dual_add_f32 v37, v37, v41
	s_delay_alu instid0(VALU_DEP_2) | instskip(SKIP_1) | instid1(VALU_DEP_3)
	v_fmamk_f32 v41, v143, 0xbf59a7d5, v43
	v_fmac_f32_e32 v146, 0xbf06c442, v136
	v_dual_add_f32 v196, v217, v206 :: v_dual_add_f32 v37, v39, v37
	s_delay_alu instid0(VALU_DEP_1) | instskip(SKIP_2) | instid1(VALU_DEP_4)
	v_add_f32_e32 v195, v219, v196
	v_add_f32_e32 v196, v199, v197
	v_fma_f32 v197, 0x3f6eb680, v152, -v200
	v_dual_add_f32 v96, v222, v220 :: v_dual_add_f32 v33, v33, v37
	s_delay_alu instid0(VALU_DEP_4) | instskip(NEXT) | instid1(VALU_DEP_4)
	v_add_f32_e32 v195, v221, v195
	v_add_f32_e32 v196, v201, v196
	s_delay_alu instid0(VALU_DEP_4)
	v_add_f32_e32 v194, v197, v194
	v_fma_f32 v197, 0xbf7ba420, v159, -v186
	v_mul_f32_e32 v159, 0x3f3d2fb0, v159
	v_add_f32_e32 v97, v226, v195
	v_add_f32_e32 v195, v202, v196
	v_add_f32_e32 v208, v210, v208
	v_fma_f32 v196, 0xbf1a4643, v153, -v204
	v_add_f32_e32 v185, v197, v185
	v_add_f32_e32 v33, v35, v33
	s_delay_alu instid0(VALU_DEP_4) | instskip(SKIP_1) | instid1(VALU_DEP_4)
	v_dual_add_f32 v195, v203, v195 :: v_dual_add_f32 v208, v209, v208
	v_fma_f32 v209, 0x3ee437d1, v153, -v218
	v_dual_add_f32 v186, v196, v194 :: v_dual_add_f32 v181, v181, v185
	s_delay_alu instid0(VALU_DEP_3) | instskip(SKIP_1) | instid1(VALU_DEP_3)
	v_add_f32_e32 v194, v205, v195
	v_add_f32_e32 v1, v1, v33
	v_dual_add_f32 v98, v209, v208 :: v_dual_add_f32 v181, v182, v181
	v_add_f32_e32 v182, v183, v190
	s_delay_alu instid0(VALU_DEP_4) | instskip(NEXT) | instid1(VALU_DEP_4)
	v_add_f32_e32 v185, v207, v194
	v_add_f32_e32 v1, v3, v1
	s_delay_alu instid0(VALU_DEP_4) | instskip(NEXT) | instid1(VALU_DEP_4)
	v_add_f32_e32 v180, v180, v181
	v_dual_add_f32 v181, v184, v182 :: v_dual_fmamk_f32 v182, v135, 0x3eb8f4ab, v160
	v_mul_f32_e32 v183, 0x3f763a35, v151
	v_fmamk_f32 v184, v132, 0x3f2c7751, v159
	s_delay_alu instid0(VALU_DEP_3) | instskip(SKIP_3) | instid1(VALU_DEP_4)
	v_dual_add_f32 v178, v178, v180 :: v_dual_add_f32 v169, v189, v181
	v_mul_f32_e32 v180, 0xbf4c4adb, v148
	v_dual_add_f32 v182, v80, v182 :: v_dual_mul_f32 v181, 0xbe3c28d5, v149
	v_mul_f32_e32 v189, 0xbe8c1d8e, v156
	v_add_f32_e32 v169, v192, v169
	s_delay_alu instid0(VALU_DEP_3) | instskip(SKIP_1) | instid1(VALU_DEP_3)
	v_dual_fmac_f32 v159, 0xbf2c7751, v132 :: v_dual_add_f32 v182, v184, v182
	v_add_f32_e32 v185, v212, v185
	v_add_f32_e32 v169, v187, v169
	;; [unrolled: 1-line block ×3, first 2 shown]
	v_fma_f32 v179, 0x3f3d2fb0, v153, -v188
	s_delay_alu instid0(VALU_DEP_3) | instskip(NEXT) | instid1(VALU_DEP_2)
	v_dual_mul_f32 v188, 0x3dbcf732, v155 :: v_dual_add_f32 v169, v193, v169
	v_add_f32_e32 v170, v179, v178
	v_mul_f32_e32 v178, 0x3ee437d1, v152
	v_add_f32_e32 v174, v79, v174
	v_dual_fmamk_f32 v179, v139, 0x3dbcf732, v176 :: v_dual_add_f32 v162, v177, v162
	v_mul_f32_e32 v177, 0x3f06c442, v150
	s_delay_alu instid0(VALU_DEP_2) | instskip(SKIP_2) | instid1(VALU_DEP_2)
	v_dual_add_f32 v174, v179, v174 :: v_dual_fmamk_f32 v179, v140, 0xbf1a4643, v180
	v_fmamk_f32 v166, v132, 0x3f7ee86f, v171
	v_fmac_f32_e32 v171, 0xbf7ee86f, v132
	v_add_f32_e32 v165, v166, v165
	v_mul_f32_e32 v167, 0xbf1a4643, v158
	v_mul_f32_e32 v158, 0x3ee437d1, v158
	s_delay_alu instid0(VALU_DEP_1) | instskip(SKIP_1) | instid1(VALU_DEP_2)
	v_dual_mul_f32 v187, 0x3f65296c, v154 :: v_dual_fmamk_f32 v184, v130, 0x3f65296c, v158
	v_fmac_f32_e32 v158, 0xbf65296c, v130
	v_add_f32_e32 v182, v184, v182
	v_fmamk_f32 v184, v131, 0x3f7ee86f, v188
	v_fmamk_f32 v166, v130, 0x3f4c4adb, v167
	v_fmac_f32_e32 v188, 0xbf7ee86f, v131
	s_delay_alu instid0(VALU_DEP_2) | instskip(SKIP_2) | instid1(VALU_DEP_3)
	v_dual_add_f32 v164, v166, v165 :: v_dual_fmamk_f32 v165, v131, 0x3e3c28d5, v173
	v_mul_f32_e32 v166, 0xbf59a7d5, v156
	v_dual_fmac_f32 v173, 0xbe3c28d5, v131 :: v_dual_add_f32 v44, v52, v44
	v_dual_fmac_f32 v167, 0xbf4c4adb, v130 :: v_dual_add_f32 v164, v165, v164
	s_delay_alu instid0(VALU_DEP_3) | instskip(SKIP_1) | instid1(VALU_DEP_4)
	v_fmamk_f32 v165, v133, 0xbf06c442, v166
	v_mul_f32_e32 v52, 0xbf7ba420, v153
	v_add_f32_e32 v44, v54, v44
	s_delay_alu instid0(VALU_DEP_3) | instskip(NEXT) | instid1(VALU_DEP_2)
	v_dual_add_f32 v164, v165, v164 :: v_dual_fmamk_f32 v165, v134, 0xbf763a35, v175
	v_dual_add_f32 v40, v40, v44 :: v_dual_fmac_f32 v175, 0x3f763a35, v134
	s_delay_alu instid0(VALU_DEP_2) | instskip(NEXT) | instid1(VALU_DEP_1)
	v_dual_add_f32 v164, v165, v164 :: v_dual_fmamk_f32 v165, v136, 0xbf65296c, v178
	v_dual_add_f32 v164, v165, v164 :: v_dual_add_f32 v165, v179, v174
	v_fmamk_f32 v174, v141, 0xbf7ba420, v181
	v_mul_f32_e32 v179, 0x3f6eb680, v153
	s_delay_alu instid0(VALU_DEP_2) | instskip(SKIP_1) | instid1(VALU_DEP_3)
	v_add_f32_e32 v165, v174, v165
	v_fmamk_f32 v174, v142, 0xbf59a7d5, v177
	v_fmamk_f32 v155, v137, 0xbeb8f4ab, v179
	v_fma_f32 v35, 0x3f3d2fb0, v138, -v168
	v_fmamk_f32 v44, v137, 0x3e3c28d5, v52
	v_fmac_f32_e32 v179, 0x3eb8f4ab, v137
	v_dual_add_f32 v165, v174, v165 :: v_dual_fmamk_f32 v174, v144, 0xbe8c1d8e, v183
	v_add_f32_e32 v156, v155, v164
	v_add_f32_e32 v33, v79, v35
	v_fma_f32 v35, 0x3dbcf732, v139, -v176
	v_add_f32_e32 v42, v42, v40
	v_dual_add_f32 v165, v174, v165 :: v_dual_fmamk_f32 v174, v143, 0x3ee437d1, v187
	v_fmac_f32_e32 v166, 0x3f06c442, v133
	s_delay_alu instid0(VALU_DEP_3) | instskip(SKIP_1) | instid1(VALU_DEP_4)
	v_dual_add_f32 v3, v35, v33 :: v_dual_add_f32 v36, v36, v42
	v_fma_f32 v35, 0xbf59a7d5, v142, -v177
	v_add_f32_e32 v155, v174, v165
	v_dual_add_f32 v165, v184, v182 :: v_dual_fmamk_f32 v174, v133, 0x3f763a35, v189
	s_delay_alu instid0(VALU_DEP_4) | instskip(SKIP_1) | instid1(VALU_DEP_3)
	v_dual_add_f32 v36, v38, v36 :: v_dual_fmac_f32 v189, 0xbf763a35, v133
	v_fma_f32 v33, 0xbf1a4643, v140, -v180
	v_dual_fmac_f32 v178, 0x3f65296c, v136 :: v_dual_add_f32 v165, v174, v165
	v_fmamk_f32 v174, v134, 0x3f4c4adb, v157
	s_delay_alu instid0(VALU_DEP_4) | instskip(SKIP_1) | instid1(VALU_DEP_3)
	v_dual_add_f32 v32, v32, v36 :: v_dual_fmac_f32 v157, 0xbf4c4adb, v134
	v_fmac_f32_e32 v172, 0xbf2c7751, v135
	v_dual_fmac_f32 v160, 0xbeb8f4ab, v135 :: v_dual_add_f32 v47, v174, v165
	s_delay_alu instid0(VALU_DEP_3) | instskip(NEXT) | instid1(VALU_DEP_3)
	v_dual_add_f32 v32, v34, v32 :: v_dual_add_f32 v3, v33, v3
	v_add_f32_e32 v38, v80, v172
	v_fma_f32 v33, 0x3f6eb680, v138, -v46
	s_delay_alu instid0(VALU_DEP_4) | instskip(SKIP_1) | instid1(VALU_DEP_4)
	v_add_f32_e32 v47, v48, v47
	v_dual_add_f32 v48, v56, v49 :: v_dual_fmamk_f32 v49, v141, 0x3dbcf732, v50
	v_add_f32_e32 v36, v171, v38
	v_add_f32_e32 v0, v0, v32
	s_delay_alu instid0(VALU_DEP_4) | instskip(NEXT) | instid1(VALU_DEP_4)
	v_add_f32_e32 v40, v44, v47
	v_dual_add_f32 v48, v49, v48 :: v_dual_fmamk_f32 v49, v142, 0xbe8c1d8e, v51
	v_mul_f32_e32 v164, 0x3eb8f4ab, v161
	v_add_f32_e32 v34, v167, v36
	v_add_f32_e32 v0, v2, v0
	s_delay_alu instid0(VALU_DEP_4) | instskip(NEXT) | instid1(VALU_DEP_4)
	v_add_f32_e32 v45, v49, v48
	v_fmamk_f32 v182, v145, 0x3f6eb680, v164
	v_fmamk_f32 v48, v144, 0xbf1a4643, v53
	v_add_f32_e32 v32, v173, v34
	v_add_f32_e32 v34, v80, v160
	v_fma_f32 v36, 0x3f6eb680, v145, -v164
	s_delay_alu instid0(VALU_DEP_4) | instskip(NEXT) | instid1(VALU_DEP_4)
	v_dual_add_f32 v155, v182, v155 :: v_dual_add_f32 v44, v48, v45
	v_add_f32_e32 v2, v166, v32
	v_fma_f32 v32, 0xbf7ba420, v141, -v181
	v_mul_f32_e32 v42, 0xbe3c28d5, v161
	s_delay_alu instid0(VALU_DEP_4) | instskip(NEXT) | instid1(VALU_DEP_3)
	v_dual_add_f32 v34, v159, v34 :: v_dual_add_f32 v39, v41, v44
	v_dual_add_f32 v2, v175, v2 :: v_dual_add_f32 v3, v32, v3
	v_add_f32_e32 v32, v79, v33
	v_fma_f32 v33, 0x3f3d2fb0, v139, -v57
	s_delay_alu instid0(VALU_DEP_4) | instskip(NEXT) | instid1(VALU_DEP_4)
	v_dual_add_f32 v34, v158, v34 :: v_dual_fmamk_f32 v41, v145, 0xbf7ba420, v42
	v_add_f32_e32 v3, v35, v3
	v_fma_f32 v35, 0xbe8c1d8e, v144, -v183
	s_delay_alu instid0(VALU_DEP_4) | instskip(SKIP_2) | instid1(VALU_DEP_4)
	v_add_f32_e32 v32, v33, v32
	v_fma_f32 v33, 0x3ee437d1, v140, -v59
	v_dual_add_f32 v34, v188, v34 :: v_dual_add_f32 v39, v41, v39
	v_add_f32_e32 v3, v35, v3
	v_fma_f32 v35, 0x3ee437d1, v143, -v187
	s_delay_alu instid0(VALU_DEP_4) | instskip(SKIP_2) | instid1(VALU_DEP_4)
	v_add_f32_e32 v32, v33, v32
	v_fma_f32 v33, 0x3dbcf732, v141, -v50
	v_add_f32_e32 v34, v189, v34
	v_dual_add_f32 v2, v178, v2 :: v_dual_add_f32 v35, v35, v3
	v_fmac_f32_e32 v52, 0xbe3c28d5, v137
	s_delay_alu instid0(VALU_DEP_4) | instskip(SKIP_4) | instid1(VALU_DEP_4)
	v_add_f32_e32 v32, v33, v32
	v_fma_f32 v33, 0xbe8c1d8e, v142, -v51
	v_add_f32_e32 v3, v157, v34
	v_mul_lo_u16 v34, v116, 17
	v_fma_f32 v38, 0xbf7ba420, v145, -v42
	v_add_f32_e32 v32, v33, v32
	v_fma_f32 v33, 0xbf1a4643, v144, -v53
	s_delay_alu instid0(VALU_DEP_4) | instskip(SKIP_1) | instid1(VALU_DEP_3)
	v_dual_add_f32 v37, v146, v3 :: v_dual_and_b32 v34, 0xffff, v34
	v_dual_add_f32 v3, v179, v2 :: v_dual_add_f32 v2, v36, v35
	v_add_f32_e32 v32, v33, v32
	v_fma_f32 v33, 0xbf59a7d5, v143, -v43
	s_delay_alu instid0(VALU_DEP_4) | instskip(NEXT) | instid1(VALU_DEP_2)
	v_lshl_add_u32 v34, v34, 3, v118
	v_dual_add_f32 v32, v33, v32 :: v_dual_add_f32 v33, v52, v37
	s_delay_alu instid0(VALU_DEP_1)
	v_add_f32_e32 v32, v38, v32
	ds_store_2addr_b64 v34, v[0:1], v[39:40] offset1:1
	ds_store_2addr_b64 v34, v[155:156], v[162:163] offset0:2 offset1:3
	ds_store_2addr_b64 v34, v[169:170], v[185:186] offset0:4 offset1:5
	;; [unrolled: 1-line block ×7, first 2 shown]
	ds_store_b64 v34, v[32:33] offset:128
.LBB0_13:
	s_wait_alu 0xfffe
	s_or_b32 exec_lo, exec_lo, s0
	v_add_nc_u32_e32 v79, 0x800, v120
	global_wb scope:SCOPE_SE
	s_wait_dscnt 0x0
	s_barrier_signal -1
	s_barrier_wait -1
	global_inv scope:SCOPE_SE
	ds_load_2addr_b64 v[0:3], v79 offset0:16 offset1:50
	ds_load_2addr_b64 v[32:35], v79 offset0:84 offset1:118
	;; [unrolled: 1-line block ×3, first 2 shown]
	ds_load_2addr_b64 v[40:43], v120 offset1:34
	ds_load_2addr_b64 v[44:47], v120 offset0:68 offset1:102
	ds_load_2addr_b64 v[48:51], v120 offset0:136 offset1:170
	;; [unrolled: 1-line block ×4, first 2 shown]
	global_wb scope:SCOPE_SE
	s_wait_dscnt 0x0
	s_barrier_signal -1
	s_barrier_wait -1
	global_inv scope:SCOPE_SE
	v_mul_f32_e32 v80, v66, v1
	v_dual_mul_f32 v66, v66, v0 :: v_dual_mul_f32 v81, v72, v3
	v_dual_mul_f32 v82, v74, v33 :: v_dual_mul_f32 v83, v76, v35
	v_mul_f32_e32 v84, v70, v37
	v_mul_f32_e32 v70, v70, v36
	s_delay_alu instid0(VALU_DEP_4)
	v_fma_f32 v1, v65, v1, -v66
	v_mul_f32_e32 v76, v76, v34
	v_dual_mul_f32 v74, v74, v32 :: v_dual_mul_f32 v85, v68, v39
	v_dual_fmac_f32 v80, v65, v0 :: v_dual_fmac_f32 v81, v71, v2
	v_dual_fmac_f32 v82, v73, v32 :: v_dual_fmac_f32 v83, v75, v34
	v_mul_f32_e32 v0, v68, v38
	v_fma_f32 v68, v69, v37, -v70
	v_sub_f32_e32 v1, v41, v1
	v_fma_f32 v66, v75, v35, -v76
	v_dual_fmac_f32 v84, v69, v36 :: v_dual_mul_f32 v69, v64, v57
	v_mul_f32_e32 v72, v72, v2
	v_fma_f32 v65, v73, v33, -v74
	v_dual_mul_f32 v2, v64, v56 :: v_dual_fmac_f32 v85, v67, v38
	s_delay_alu instid0(VALU_DEP_4) | instskip(NEXT) | instid1(VALU_DEP_4)
	v_fmac_f32_e32 v69, v63, v56
	v_fma_f32 v3, v71, v3, -v72
	s_delay_alu instid0(VALU_DEP_4) | instskip(NEXT) | instid1(VALU_DEP_4)
	v_sub_f32_e32 v35, v45, v65
	v_fma_f32 v57, v63, v57, -v2
	v_mul_f32_e32 v64, v62, v59
	s_delay_alu instid0(VALU_DEP_4)
	v_dual_sub_f32 v34, v44, v82 :: v_dual_sub_f32 v33, v43, v3
	v_fma_f32 v67, v67, v39, -v0
	v_mul_f32_e32 v32, v62, v58
	v_dual_sub_f32 v0, v40, v80 :: v_dual_sub_f32 v57, v53, v57
	v_fma_f32 v3, v41, 2.0, -v1
	v_sub_f32_e32 v41, v47, v66
	v_fma_f32 v39, v45, 2.0, -v35
	s_delay_alu instid0(VALU_DEP_4)
	v_fma_f32 v2, v40, 2.0, -v0
	v_sub_f32_e32 v40, v46, v83
	v_fma_f32 v37, v43, 2.0, -v33
	v_fma_f32 v45, v47, 2.0, -v41
	v_sub_f32_e32 v47, v51, v67
	v_fma_f32 v59, v61, v59, -v32
	v_dual_sub_f32 v32, v42, v81 :: v_dual_sub_f32 v43, v49, v68
	v_fmac_f32_e32 v64, v61, v58
	v_fma_f32 v38, v44, 2.0, -v34
	s_delay_alu instid0(VALU_DEP_4) | instskip(NEXT) | instid1(VALU_DEP_4)
	v_sub_f32_e32 v59, v55, v59
	v_fma_f32 v36, v42, 2.0, -v32
	v_sub_f32_e32 v42, v48, v84
	v_fma_f32 v44, v46, 2.0, -v40
	v_sub_f32_e32 v46, v50, v85
	v_sub_f32_e32 v56, v52, v69
	;; [unrolled: 1-line block ×3, first 2 shown]
	v_fma_f32 v48, v48, 2.0, -v42
	v_fma_f32 v49, v49, 2.0, -v43
	;; [unrolled: 1-line block ×8, first 2 shown]
	ds_store_2addr_b64 v122, v[2:3], v[0:1] offset1:17
	ds_store_2addr_b64 v129, v[36:37], v[32:33] offset1:17
	ds_store_2addr_b64 v128, v[38:39], v[34:35] offset1:17
	ds_store_2addr_b64 v127, v[44:45], v[40:41] offset1:17
	ds_store_2addr_b64 v126, v[48:49], v[42:43] offset1:17
	ds_store_2addr_b64 v125, v[50:51], v[46:47] offset1:17
	ds_store_2addr_b64 v124, v[52:53], v[56:57] offset1:17
	ds_store_2addr_b64 v123, v[54:55], v[58:59] offset1:17
	global_wb scope:SCOPE_SE
	s_wait_dscnt 0x0
	s_barrier_signal -1
	s_barrier_wait -1
	global_inv scope:SCOPE_SE
	ds_load_2addr_b64 v[0:3], v120 offset1:34
	ds_load_2addr_b64 v[32:35], v120 offset0:68 offset1:102
	ds_load_2addr_b64 v[36:39], v120 offset0:136 offset1:170
	;; [unrolled: 1-line block ×7, first 2 shown]
	s_wait_dscnt 0x7
	v_mul_f32_e32 v61, v29, v3
	s_wait_dscnt 0x6
	v_dual_mul_f32 v29, v29, v2 :: v_dual_mul_f32 v62, v31, v33
	s_delay_alu instid0(VALU_DEP_2) | instskip(SKIP_2) | instid1(VALU_DEP_4)
	v_dual_fmac_f32 v61, v28, v2 :: v_dual_mul_f32 v2, v31, v32
	v_mul_f32_e32 v31, v21, v35
	v_mul_f32_e32 v21, v21, v34
	v_fma_f32 v3, v28, v3, -v29
	s_delay_alu instid0(VALU_DEP_3) | instskip(NEXT) | instid1(VALU_DEP_3)
	v_fmac_f32_e32 v31, v20, v34
	v_fma_f32 v20, v20, v35, -v21
	s_wait_dscnt 0x5
	v_mul_f32_e32 v21, v13, v39
	v_dual_mul_f32 v13, v13, v38 :: v_dual_mul_f32 v28, v23, v37
	v_mul_f32_e32 v23, v23, v36
	s_delay_alu instid0(VALU_DEP_3) | instskip(NEXT) | instid1(VALU_DEP_3)
	v_dual_fmac_f32 v62, v30, v32 :: v_dual_fmac_f32 v21, v12, v38
	v_fma_f32 v12, v12, v39, -v13
	s_delay_alu instid0(VALU_DEP_4) | instskip(NEXT) | instid1(VALU_DEP_4)
	v_fmac_f32_e32 v28, v22, v36
	v_fma_f32 v22, v22, v37, -v23
	s_wait_dscnt 0x4
	v_mul_f32_e32 v23, v15, v41
	v_mul_f32_e32 v13, v15, v40
	v_mul_f32_e32 v15, v5, v43
	v_mul_f32_e32 v5, v5, v42
	v_fma_f32 v2, v30, v33, -v2
	v_fmac_f32_e32 v23, v14, v40
	v_fma_f32 v13, v14, v41, -v13
	v_fmac_f32_e32 v15, v4, v42
	v_fma_f32 v4, v4, v43, -v5
	s_wait_dscnt 0x3
	v_mul_f32_e32 v5, v25, v47
	s_wait_dscnt 0x2
	v_dual_mul_f32 v14, v25, v46 :: v_dual_mul_f32 v25, v27, v48
	s_delay_alu instid0(VALU_DEP_2) | instskip(NEXT) | instid1(VALU_DEP_2)
	v_fmac_f32_e32 v5, v24, v46
	v_fma_f32 v14, v24, v47, -v14
	v_dual_mul_f32 v24, v17, v51 :: v_dual_mul_f32 v29, v7, v45
	v_mul_f32_e32 v7, v7, v44
	v_fma_f32 v25, v26, v49, -v25
	s_delay_alu instid0(VALU_DEP_4) | instskip(NEXT) | instid1(VALU_DEP_4)
	v_sub_f32_e32 v14, v3, v14
	v_dual_fmac_f32 v24, v16, v50 :: v_dual_fmac_f32 v29, v6, v44
	s_delay_alu instid0(VALU_DEP_4)
	v_fma_f32 v6, v6, v45, -v7
	v_mul_f32_e32 v7, v27, v49
	s_wait_dscnt 0x1
	v_mul_f32_e32 v27, v9, v55
	v_mul_f32_e32 v9, v9, v54
	v_fma_f32 v3, v3, 2.0, -v14
	v_dual_sub_f32 v6, v1, v6 :: v_dual_fmac_f32 v7, v26, v48
	s_delay_alu instid0(VALU_DEP_4) | instskip(NEXT) | instid1(VALU_DEP_4)
	v_dual_mul_f32 v26, v19, v53 :: v_dual_fmac_f32 v27, v8, v54
	v_fma_f32 v8, v8, v55, -v9
	v_mul_f32_e32 v17, v17, v50
	s_delay_alu instid0(VALU_DEP_4)
	v_fma_f32 v1, v1, 2.0, -v6
	v_mul_f32_e32 v19, v19, v52
	v_fmac_f32_e32 v26, v18, v52
	v_sub_f32_e32 v8, v12, v8
	v_fma_f32 v16, v16, v51, -v17
	v_sub_f32_e32 v25, v2, v25
	v_fma_f32 v17, v18, v53, -v19
	s_wait_dscnt 0x0
	v_mul_f32_e32 v18, v11, v57
	v_dual_sub_f32 v26, v28, v26 :: v_dual_mul_f32 v11, v11, v56
	v_fma_f32 v2, v2, 2.0, -v25
	v_sub_f32_e32 v24, v31, v24
	s_delay_alu instid0(VALU_DEP_4) | instskip(NEXT) | instid1(VALU_DEP_4)
	v_fmac_f32_e32 v18, v10, v56
	v_fma_f32 v28, v28, 2.0, -v26
	v_sub_f32_e32 v26, v6, v26
	v_fma_f32 v10, v10, v57, -v11
	v_fma_f32 v12, v12, 2.0, -v8
	v_dual_sub_f32 v18, v23, v18 :: v_dual_sub_f32 v17, v22, v17
	s_delay_alu instid0(VALU_DEP_4) | instskip(NEXT) | instid1(VALU_DEP_4)
	v_fma_f32 v6, v6, 2.0, -v26
	v_sub_f32_e32 v10, v13, v10
	v_sub_f32_e32 v16, v20, v16
	s_delay_alu instid0(VALU_DEP_4)
	v_fma_f32 v23, v23, 2.0, -v18
	v_sub_f32_e32 v18, v25, v18
	v_sub_f32_e32 v12, v3, v12
	v_fma_f32 v13, v13, 2.0, -v10
	v_fma_f32 v20, v20, 2.0, -v16
	;; [unrolled: 1-line block ×4, first 2 shown]
	v_sub_f32_e32 v7, v62, v7
	v_fma_f32 v3, v3, 2.0, -v12
	v_fma_f32 v31, v31, 2.0, -v24
	v_sub_f32_e32 v22, v1, v22
	v_dual_fmamk_f32 v34, v25, 0xbf3504f3, v6 :: v_dual_sub_f32 v11, v0, v29
	v_add_f32_e32 v10, v7, v10
	v_fma_f32 v29, v62, 2.0, -v7
	s_delay_alu instid0(VALU_DEP_4) | instskip(SKIP_4) | instid1(VALU_DEP_4)
	v_fma_f32 v1, v1, 2.0, -v22
	v_fmamk_f32 v38, v18, 0x3f3504f3, v26
	v_fma_f32 v0, v0, 2.0, -v11
	v_fma_f32 v7, v7, 2.0, -v10
	v_sub_f32_e32 v5, v61, v5
	v_dual_mul_f32 v9, v78, v59 :: v_dual_fmac_f32 v38, 0xbf3504f3, v10
	s_delay_alu instid0(VALU_DEP_4) | instskip(NEXT) | instid1(VALU_DEP_4)
	v_sub_f32_e32 v28, v0, v28
	v_dual_fmac_f32 v34, 0xbf3504f3, v7 :: v_dual_mul_f32 v19, v78, v58
	s_delay_alu instid0(VALU_DEP_4) | instskip(SKIP_1) | instid1(VALU_DEP_4)
	v_add_f32_e32 v8, v5, v8
	v_fma_f32 v30, v61, 2.0, -v5
	v_fma_f32 v0, v0, 2.0, -v28
	;; [unrolled: 1-line block ×3, first 2 shown]
	v_fma_f32 v19, v77, v59, -v19
	v_fma_f32 v5, v5, 2.0, -v8
	s_delay_alu instid0(VALU_DEP_2) | instskip(NEXT) | instid1(VALU_DEP_1)
	v_sub_f32_e32 v19, v4, v19
	v_fma_f32 v4, v4, 2.0, -v19
	s_delay_alu instid0(VALU_DEP_1) | instskip(NEXT) | instid1(VALU_DEP_1)
	v_dual_fmac_f32 v9, v77, v58 :: v_dual_sub_f32 v4, v20, v4
	v_sub_f32_e32 v9, v15, v9
	s_delay_alu instid0(VALU_DEP_2) | instskip(SKIP_1) | instid1(VALU_DEP_3)
	v_fma_f32 v20, v20, 2.0, -v4
	v_sub_f32_e32 v13, v2, v13
	v_fma_f32 v15, v15, 2.0, -v9
	s_delay_alu instid0(VALU_DEP_3) | instskip(NEXT) | instid1(VALU_DEP_3)
	v_dual_sub_f32 v9, v16, v9 :: v_dual_sub_f32 v20, v3, v20
	v_dual_sub_f32 v23, v29, v23 :: v_dual_add_f32 v36, v28, v13
	v_fma_f32 v2, v2, 2.0, -v13
	v_fma_f32 v13, v6, 2.0, -v34
	s_delay_alu instid0(VALU_DEP_3) | instskip(NEXT) | instid1(VALU_DEP_3)
	v_fma_f32 v29, v29, 2.0, -v23
	v_sub_f32_e32 v33, v1, v2
	v_fma_f32 v2, v16, 2.0, -v9
	s_delay_alu instid0(VALU_DEP_3) | instskip(SKIP_1) | instid1(VALU_DEP_2)
	v_sub_f32_e32 v29, v0, v29
	v_sub_f32_e32 v37, v22, v23
	v_fma_f32 v16, v0, 2.0, -v29
	v_sub_f32_e32 v15, v31, v15
	s_delay_alu instid0(VALU_DEP_1) | instskip(SKIP_1) | instid1(VALU_DEP_1)
	v_fma_f32 v31, v31, 2.0, -v15
	v_add_f32_e32 v17, v11, v17
	v_fma_f32 v11, v11, 2.0, -v17
	v_fmamk_f32 v35, v10, 0x3f3504f3, v17
	s_delay_alu instid0(VALU_DEP_2) | instskip(NEXT) | instid1(VALU_DEP_2)
	v_dual_fmamk_f32 v32, v7, 0xbf3504f3, v11 :: v_dual_sub_f32 v27, v21, v27
	v_fmac_f32_e32 v35, 0x3f3504f3, v18
	v_fma_f32 v18, v28, 2.0, -v36
	s_delay_alu instid0(VALU_DEP_3) | instskip(NEXT) | instid1(VALU_DEP_4)
	v_fmac_f32_e32 v32, 0x3f3504f3, v25
	v_fma_f32 v21, v21, 2.0, -v27
	s_delay_alu instid0(VALU_DEP_2) | instskip(SKIP_1) | instid1(VALU_DEP_3)
	v_fma_f32 v11, v11, 2.0, -v32
	v_add_f32_e32 v19, v24, v19
	v_sub_f32_e32 v21, v30, v21
	s_delay_alu instid0(VALU_DEP_2) | instskip(NEXT) | instid1(VALU_DEP_2)
	v_fma_f32 v24, v24, 2.0, -v19
	v_fma_f32 v30, v30, 2.0, -v21
	s_delay_alu instid0(VALU_DEP_1) | instskip(NEXT) | instid1(VALU_DEP_1)
	v_dual_fmamk_f32 v23, v24, 0xbf3504f3, v5 :: v_dual_sub_f32 v28, v30, v31
	v_fma_f32 v0, v30, 2.0, -v28
	v_dual_fmamk_f32 v30, v19, 0x3f3504f3, v8 :: v_dual_sub_f32 v27, v14, v27
	s_delay_alu instid0(VALU_DEP_2) | instskip(NEXT) | instid1(VALU_DEP_2)
	v_sub_f32_e32 v0, v16, v0
	v_fmac_f32_e32 v30, 0x3f3504f3, v9
	s_delay_alu instid0(VALU_DEP_3) | instskip(SKIP_3) | instid1(VALU_DEP_4)
	v_fma_f32 v14, v14, 2.0, -v27
	v_dual_sub_f32 v40, v12, v15 :: v_dual_fmac_f32 v23, 0x3f3504f3, v2
	v_fma_f32 v25, v1, 2.0, -v33
	v_fma_f32 v1, v3, 2.0, -v20
	v_fmamk_f32 v31, v2, 0xbf3504f3, v14
	s_delay_alu instid0(VALU_DEP_4) | instskip(SKIP_2) | instid1(VALU_DEP_4)
	v_fma_f32 v12, v12, 2.0, -v40
	v_fma_f32 v10, v5, 2.0, -v23
	v_fma_f32 v2, v16, 2.0, -v0
	v_fmac_f32_e32 v31, 0xbf3504f3, v24
	s_delay_alu instid0(VALU_DEP_1) | instskip(SKIP_2) | instid1(VALU_DEP_3)
	v_fma_f32 v6, v14, 2.0, -v31
	v_fma_f32 v14, v8, 2.0, -v30
	v_dual_add_f32 v39, v21, v4 :: v_dual_fmamk_f32 v4, v10, 0xbf6c835e, v11
	v_fmamk_f32 v5, v6, 0xbf6c835e, v13
	s_delay_alu instid0(VALU_DEP_2) | instskip(SKIP_1) | instid1(VALU_DEP_4)
	v_fmac_f32_e32 v4, 0x3ec3ef15, v6
	v_fmamk_f32 v41, v9, 0x3f3504f3, v27
	v_fma_f32 v9, v21, 2.0, -v39
	s_delay_alu instid0(VALU_DEP_4) | instskip(NEXT) | instid1(VALU_DEP_4)
	v_fmac_f32_e32 v5, 0xbec3ef15, v10
	v_fma_f32 v10, v11, 2.0, -v4
	s_delay_alu instid0(VALU_DEP_3) | instskip(SKIP_3) | instid1(VALU_DEP_4)
	v_dual_fmac_f32 v41, 0xbf3504f3, v19 :: v_dual_fmamk_f32 v6, v9, 0xbf3504f3, v18
	v_add_f32_e32 v16, v29, v20
	v_fma_f32 v22, v22, 2.0, -v37
	v_fma_f32 v11, v13, 2.0, -v5
	;; [unrolled: 1-line block ×3, first 2 shown]
	v_fmac_f32_e32 v6, 0x3f3504f3, v12
	v_fmamk_f32 v19, v31, 0x3ec3ef15, v34
	v_fmamk_f32 v7, v12, 0xbf3504f3, v22
	v_fma_f32 v20, v29, 2.0, -v16
	s_delay_alu instid0(VALU_DEP_4) | instskip(NEXT) | instid1(VALU_DEP_3)
	v_fma_f32 v12, v18, 2.0, -v6
	v_fmac_f32_e32 v7, 0xbf3504f3, v9
	v_fmamk_f32 v9, v15, 0xbec3ef15, v26
	s_delay_alu instid0(VALU_DEP_2) | instskip(SKIP_2) | instid1(VALU_DEP_4)
	v_fma_f32 v13, v22, 2.0, -v7
	v_fmamk_f32 v22, v39, 0x3f3504f3, v36
	v_fma_f32 v17, v17, 2.0, -v35
	v_fmac_f32_e32 v9, 0xbf6c835e, v14
	v_fmamk_f32 v24, v30, 0x3f6c835e, v35
	s_delay_alu instid0(VALU_DEP_4) | instskip(NEXT) | instid1(VALU_DEP_4)
	v_fmac_f32_e32 v22, 0x3f3504f3, v40
	v_dual_fmamk_f32 v8, v14, 0xbec3ef15, v17 :: v_dual_sub_f32 v1, v25, v1
	v_fmamk_f32 v18, v23, 0x3ec3ef15, v32
	v_fmac_f32_e32 v19, 0xbf6c835e, v23
	v_fmamk_f32 v23, v40, 0x3f3504f3, v37
	s_delay_alu instid0(VALU_DEP_4)
	v_fmac_f32_e32 v8, 0x3f6c835e, v15
	v_fma_f32 v3, v25, 2.0, -v1
	v_fmamk_f32 v25, v41, 0x3f6c835e, v38
	v_fmac_f32_e32 v18, 0x3f6c835e, v31
	v_fmac_f32_e32 v23, 0xbf3504f3, v39
	v_fma_f32 v14, v17, 2.0, -v8
	v_dual_sub_f32 v17, v33, v28 :: v_dual_fmac_f32 v24, 0x3ec3ef15, v41
	v_fmac_f32_e32 v25, 0xbec3ef15, v30
	ds_store_b64 v121, v[2:3]
	v_add_nc_u32_e32 v3, 0x400, v119
	v_add_nc_u32_e32 v2, 0x800, v119
	v_fma_f32 v15, v26, 2.0, -v9
	v_fma_f32 v21, v33, 2.0, -v17
	v_fma_f32 v26, v32, 2.0, -v18
	v_fma_f32 v27, v34, 2.0, -v19
	v_fma_f32 v28, v36, 2.0, -v22
	v_fma_f32 v29, v37, 2.0, -v23
	v_fma_f32 v30, v35, 2.0, -v24
	v_fma_f32 v31, v38, 2.0, -v25
	ds_store_2addr_b64 v119, v[10:11], v[12:13] offset0:34 offset1:68
	ds_store_2addr_b64 v119, v[14:15], v[20:21] offset0:102 offset1:136
	;; [unrolled: 1-line block ×7, first 2 shown]
	ds_store_b64 v119, v[24:25] offset:4080
	global_wb scope:SCOPE_SE
	s_wait_dscnt 0x0
	s_barrier_signal -1
	s_barrier_wait -1
	global_inv scope:SCOPE_SE
	s_and_b32 exec_lo, exec_lo, vcc_lo
	s_cbranch_execz .LBB0_15
; %bb.14:
	global_load_b64 v[0:1], v100, s[8:9]
	ds_load_b64 v[4:5], v117
	v_mad_co_u64_u32 v[8:9], null, s4, v116, 0
	s_mov_b32 s0, 0x1e1e1e1e
	s_mov_b32 s1, 0x3f5e1e1e
	s_wait_loadcnt_dscnt 0x0
	v_mul_f32_e32 v6, v5, v1
	v_mul_f32_e32 v1, v4, v1
	s_delay_alu instid0(VALU_DEP_2) | instskip(NEXT) | instid1(VALU_DEP_2)
	v_fmac_f32_e32 v6, v4, v0
	v_fma_f32 v4, v0, v5, -v1
	s_delay_alu instid0(VALU_DEP_2) | instskip(NEXT) | instid1(VALU_DEP_2)
	v_cvt_f64_f32_e32 v[0:1], v6
	v_cvt_f64_f32_e32 v[4:5], v4
	v_mad_co_u64_u32 v[6:7], null, s6, v60, 0
	s_wait_alu 0xfffe
	s_delay_alu instid0(VALU_DEP_3) | instskip(NEXT) | instid1(VALU_DEP_3)
	v_mul_f64_e32 v[0:1], s[0:1], v[0:1]
	v_mul_f64_e32 v[4:5], s[0:1], v[4:5]
	s_delay_alu instid0(VALU_DEP_2) | instskip(SKIP_1) | instid1(VALU_DEP_3)
	v_cvt_f32_f64_e32 v10, v[0:1]
	v_mov_b32_e32 v1, v9
	v_cvt_f32_f64_e32 v11, v[4:5]
	v_mov_b32_e32 v0, v7
	s_delay_alu instid0(VALU_DEP_1) | instskip(SKIP_1) | instid1(VALU_DEP_2)
	v_mad_co_u64_u32 v[4:5], null, s7, v60, v[0:1]
	v_mad_co_u64_u32 v[0:1], null, s5, v116, v[1:2]
	v_mov_b32_e32 v7, v4
	s_delay_alu instid0(VALU_DEP_2) | instskip(NEXT) | instid1(VALU_DEP_2)
	v_mov_b32_e32 v9, v0
	v_lshlrev_b64_e32 v[0:1], 3, v[6:7]
	s_delay_alu instid0(VALU_DEP_2) | instskip(NEXT) | instid1(VALU_DEP_2)
	v_lshlrev_b64_e32 v[4:5], 3, v[8:9]
	v_add_co_u32 v0, vcc_lo, s12, v0
	s_delay_alu instid0(VALU_DEP_3) | instskip(NEXT) | instid1(VALU_DEP_2)
	v_add_co_ci_u32_e32 v1, vcc_lo, s13, v1, vcc_lo
	v_add_co_u32 v4, vcc_lo, v0, v4
	s_wait_alu 0xfffd
	s_delay_alu instid0(VALU_DEP_2)
	v_add_co_ci_u32_e32 v5, vcc_lo, v1, v5, vcc_lo
	global_store_b64 v[4:5], v[10:11], off
	global_load_b64 v[8:9], v100, s[8:9] offset:256
	ds_load_2addr_b64 v[4:7], v119 offset0:32 offset1:64
	s_wait_loadcnt_dscnt 0x0
	v_mul_f32_e32 v10, v5, v9
	v_mul_f32_e32 v9, v4, v9
	s_delay_alu instid0(VALU_DEP_2) | instskip(NEXT) | instid1(VALU_DEP_2)
	v_fmac_f32_e32 v10, v4, v8
	v_fma_f32 v8, v8, v5, -v9
	s_delay_alu instid0(VALU_DEP_2) | instskip(NEXT) | instid1(VALU_DEP_2)
	v_cvt_f64_f32_e32 v[4:5], v10
	v_cvt_f64_f32_e32 v[8:9], v8
	v_mad_co_u64_u32 v[10:11], null, s4, v115, 0
	s_delay_alu instid0(VALU_DEP_3) | instskip(NEXT) | instid1(VALU_DEP_3)
	v_mul_f64_e32 v[4:5], s[0:1], v[4:5]
	v_mul_f64_e32 v[8:9], s[0:1], v[8:9]
	s_delay_alu instid0(VALU_DEP_2) | instskip(NEXT) | instid1(VALU_DEP_2)
	v_cvt_f32_f64_e32 v4, v[4:5]
	v_cvt_f32_f64_e32 v5, v[8:9]
	v_mov_b32_e32 v8, v11
	s_delay_alu instid0(VALU_DEP_1) | instskip(NEXT) | instid1(VALU_DEP_1)
	v_mad_co_u64_u32 v[8:9], null, s5, v115, v[8:9]
	v_mov_b32_e32 v11, v8
	s_delay_alu instid0(VALU_DEP_1) | instskip(NEXT) | instid1(VALU_DEP_1)
	v_lshlrev_b64_e32 v[8:9], 3, v[10:11]
	v_add_co_u32 v8, vcc_lo, v0, v8
	s_wait_alu 0xfffd
	s_delay_alu instid0(VALU_DEP_2)
	v_add_co_ci_u32_e32 v9, vcc_lo, v1, v9, vcc_lo
	global_store_b64 v[8:9], v[4:5], off
	global_load_b64 v[4:5], v100, s[8:9] offset:512
	s_wait_loadcnt 0x0
	v_mul_f32_e32 v8, v7, v5
	v_mul_f32_e32 v5, v6, v5
	s_delay_alu instid0(VALU_DEP_2) | instskip(NEXT) | instid1(VALU_DEP_2)
	v_fmac_f32_e32 v8, v6, v4
	v_fma_f32 v6, v4, v7, -v5
	s_delay_alu instid0(VALU_DEP_2) | instskip(NEXT) | instid1(VALU_DEP_2)
	v_cvt_f64_f32_e32 v[4:5], v8
	v_cvt_f64_f32_e32 v[6:7], v6
	v_mad_co_u64_u32 v[8:9], null, s4, v114, 0
	s_delay_alu instid0(VALU_DEP_3) | instskip(NEXT) | instid1(VALU_DEP_3)
	v_mul_f64_e32 v[4:5], s[0:1], v[4:5]
	v_mul_f64_e32 v[6:7], s[0:1], v[6:7]
	s_delay_alu instid0(VALU_DEP_2) | instskip(NEXT) | instid1(VALU_DEP_2)
	v_cvt_f32_f64_e32 v4, v[4:5]
	v_cvt_f32_f64_e32 v5, v[6:7]
	v_mov_b32_e32 v6, v9
	s_delay_alu instid0(VALU_DEP_1) | instskip(NEXT) | instid1(VALU_DEP_1)
	v_mad_co_u64_u32 v[6:7], null, s5, v114, v[6:7]
	v_mov_b32_e32 v9, v6
	s_delay_alu instid0(VALU_DEP_1) | instskip(NEXT) | instid1(VALU_DEP_1)
	v_lshlrev_b64_e32 v[6:7], 3, v[8:9]
	v_add_co_u32 v6, vcc_lo, v0, v6
	s_wait_alu 0xfffd
	s_delay_alu instid0(VALU_DEP_2)
	v_add_co_ci_u32_e32 v7, vcc_lo, v1, v7, vcc_lo
	global_store_b64 v[6:7], v[4:5], off
	global_load_b64 v[8:9], v100, s[8:9] offset:768
	ds_load_2addr_b64 v[4:7], v119 offset0:96 offset1:128
	s_wait_loadcnt_dscnt 0x0
	v_mul_f32_e32 v10, v5, v9
	v_mul_f32_e32 v9, v4, v9
	s_delay_alu instid0(VALU_DEP_2) | instskip(NEXT) | instid1(VALU_DEP_2)
	v_fmac_f32_e32 v10, v4, v8
	v_fma_f32 v8, v8, v5, -v9
	s_delay_alu instid0(VALU_DEP_2) | instskip(NEXT) | instid1(VALU_DEP_2)
	v_cvt_f64_f32_e32 v[4:5], v10
	v_cvt_f64_f32_e32 v[8:9], v8
	v_mad_co_u64_u32 v[10:11], null, s4, v113, 0
	s_delay_alu instid0(VALU_DEP_3) | instskip(NEXT) | instid1(VALU_DEP_3)
	v_mul_f64_e32 v[4:5], s[0:1], v[4:5]
	v_mul_f64_e32 v[8:9], s[0:1], v[8:9]
	s_delay_alu instid0(VALU_DEP_2) | instskip(NEXT) | instid1(VALU_DEP_2)
	v_cvt_f32_f64_e32 v4, v[4:5]
	v_cvt_f32_f64_e32 v5, v[8:9]
	v_mov_b32_e32 v8, v11
	s_delay_alu instid0(VALU_DEP_1) | instskip(NEXT) | instid1(VALU_DEP_1)
	v_mad_co_u64_u32 v[8:9], null, s5, v113, v[8:9]
	v_mov_b32_e32 v11, v8
	s_delay_alu instid0(VALU_DEP_1) | instskip(NEXT) | instid1(VALU_DEP_1)
	v_lshlrev_b64_e32 v[8:9], 3, v[10:11]
	v_add_co_u32 v8, vcc_lo, v0, v8
	s_wait_alu 0xfffd
	s_delay_alu instid0(VALU_DEP_2)
	v_add_co_ci_u32_e32 v9, vcc_lo, v1, v9, vcc_lo
	global_store_b64 v[8:9], v[4:5], off
	global_load_b64 v[4:5], v100, s[8:9] offset:1024
	s_wait_loadcnt 0x0
	v_mul_f32_e32 v8, v7, v5
	v_mul_f32_e32 v5, v6, v5
	s_delay_alu instid0(VALU_DEP_2) | instskip(NEXT) | instid1(VALU_DEP_2)
	v_fmac_f32_e32 v8, v6, v4
	v_fma_f32 v6, v4, v7, -v5
	s_delay_alu instid0(VALU_DEP_2) | instskip(NEXT) | instid1(VALU_DEP_2)
	v_cvt_f64_f32_e32 v[4:5], v8
	v_cvt_f64_f32_e32 v[6:7], v6
	v_mad_co_u64_u32 v[8:9], null, s4, v112, 0
	s_delay_alu instid0(VALU_DEP_3) | instskip(NEXT) | instid1(VALU_DEP_3)
	v_mul_f64_e32 v[4:5], s[0:1], v[4:5]
	v_mul_f64_e32 v[6:7], s[0:1], v[6:7]
	s_delay_alu instid0(VALU_DEP_2) | instskip(NEXT) | instid1(VALU_DEP_2)
	v_cvt_f32_f64_e32 v4, v[4:5]
	v_cvt_f32_f64_e32 v5, v[6:7]
	v_mov_b32_e32 v6, v9
	s_delay_alu instid0(VALU_DEP_1) | instskip(NEXT) | instid1(VALU_DEP_1)
	v_mad_co_u64_u32 v[6:7], null, s5, v112, v[6:7]
	v_mov_b32_e32 v9, v6
	s_delay_alu instid0(VALU_DEP_1) | instskip(NEXT) | instid1(VALU_DEP_1)
	v_lshlrev_b64_e32 v[6:7], 3, v[8:9]
	;; [unrolled: 57-line block ×7, first 2 shown]
	v_add_co_u32 v4, vcc_lo, v0, v4
	s_wait_alu 0xfffd
	s_delay_alu instid0(VALU_DEP_2)
	v_add_co_ci_u32_e32 v5, vcc_lo, v1, v5, vcc_lo
	global_store_b64 v[4:5], v[2:3], off
	global_load_b64 v[6:7], v100, s[8:9] offset:3840
	v_add_nc_u32_e32 v2, 0xc00, v119
	ds_load_2addr_b64 v[2:5], v2 offset0:96 offset1:128
	s_wait_loadcnt_dscnt 0x0
	v_mul_f32_e32 v8, v3, v7
	v_mul_f32_e32 v7, v2, v7
	s_delay_alu instid0(VALU_DEP_2) | instskip(NEXT) | instid1(VALU_DEP_2)
	v_fmac_f32_e32 v8, v2, v6
	v_fma_f32 v6, v6, v3, -v7
	s_delay_alu instid0(VALU_DEP_2) | instskip(NEXT) | instid1(VALU_DEP_2)
	v_cvt_f64_f32_e32 v[2:3], v8
	v_cvt_f64_f32_e32 v[6:7], v6
	v_mad_co_u64_u32 v[8:9], null, s4, v101, 0
	s_delay_alu instid0(VALU_DEP_3) | instskip(NEXT) | instid1(VALU_DEP_3)
	v_mul_f64_e32 v[2:3], s[0:1], v[2:3]
	v_mul_f64_e32 v[6:7], s[0:1], v[6:7]
	s_delay_alu instid0(VALU_DEP_2) | instskip(NEXT) | instid1(VALU_DEP_2)
	v_cvt_f32_f64_e32 v2, v[2:3]
	v_cvt_f32_f64_e32 v3, v[6:7]
	v_mov_b32_e32 v6, v9
	s_delay_alu instid0(VALU_DEP_1) | instskip(NEXT) | instid1(VALU_DEP_1)
	v_mad_co_u64_u32 v[6:7], null, s5, v101, v[6:7]
	v_mov_b32_e32 v9, v6
	s_delay_alu instid0(VALU_DEP_1) | instskip(NEXT) | instid1(VALU_DEP_1)
	v_lshlrev_b64_e32 v[6:7], 3, v[8:9]
	v_add_co_u32 v6, vcc_lo, v0, v6
	s_wait_alu 0xfffd
	s_delay_alu instid0(VALU_DEP_2)
	v_add_co_ci_u32_e32 v7, vcc_lo, v1, v7, vcc_lo
	global_store_b64 v[6:7], v[2:3], off
	global_load_b64 v[2:3], v100, s[8:9] offset:4096
	s_wait_loadcnt 0x0
	v_mul_f32_e32 v6, v5, v3
	v_mul_f32_e32 v3, v4, v3
	s_delay_alu instid0(VALU_DEP_2) | instskip(NEXT) | instid1(VALU_DEP_2)
	v_fmac_f32_e32 v6, v4, v2
	v_fma_f32 v4, v2, v5, -v3
	s_delay_alu instid0(VALU_DEP_2) | instskip(NEXT) | instid1(VALU_DEP_2)
	v_cvt_f64_f32_e32 v[2:3], v6
	v_cvt_f64_f32_e32 v[4:5], v4
	v_mad_co_u64_u32 v[6:7], null, s4, v99, 0
	s_delay_alu instid0(VALU_DEP_3) | instskip(NEXT) | instid1(VALU_DEP_3)
	v_mul_f64_e32 v[2:3], s[0:1], v[2:3]
	v_mul_f64_e32 v[4:5], s[0:1], v[4:5]
	s_delay_alu instid0(VALU_DEP_2) | instskip(NEXT) | instid1(VALU_DEP_2)
	v_cvt_f32_f64_e32 v2, v[2:3]
	v_cvt_f32_f64_e32 v3, v[4:5]
	v_mov_b32_e32 v4, v7
                                        ; kill: def $vgpr5 killed $sgpr0 killed $exec
	s_delay_alu instid0(VALU_DEP_1) | instskip(NEXT) | instid1(VALU_DEP_1)
	v_mad_co_u64_u32 v[4:5], null, s5, v99, v[4:5]
	v_mov_b32_e32 v7, v4
	s_delay_alu instid0(VALU_DEP_1) | instskip(NEXT) | instid1(VALU_DEP_1)
	v_lshlrev_b64_e32 v[4:5], 3, v[6:7]
	v_add_co_u32 v0, vcc_lo, v0, v4
	s_wait_alu 0xfffd
	s_delay_alu instid0(VALU_DEP_2)
	v_add_co_ci_u32_e32 v1, vcc_lo, v1, v5, vcc_lo
	global_store_b64 v[0:1], v[2:3], off
.LBB0_15:
	s_nop 0
	s_sendmsg sendmsg(MSG_DEALLOC_VGPRS)
	s_endpgm
	.section	.rodata,"a",@progbits
	.p2align	6, 0x0
	.amdhsa_kernel bluestein_single_back_len544_dim1_sp_op_CI_CI
		.amdhsa_group_segment_fixed_size 13056
		.amdhsa_private_segment_fixed_size 0
		.amdhsa_kernarg_size 104
		.amdhsa_user_sgpr_count 2
		.amdhsa_user_sgpr_dispatch_ptr 0
		.amdhsa_user_sgpr_queue_ptr 0
		.amdhsa_user_sgpr_kernarg_segment_ptr 1
		.amdhsa_user_sgpr_dispatch_id 0
		.amdhsa_user_sgpr_private_segment_size 0
		.amdhsa_wavefront_size32 1
		.amdhsa_uses_dynamic_stack 0
		.amdhsa_enable_private_segment 0
		.amdhsa_system_sgpr_workgroup_id_x 1
		.amdhsa_system_sgpr_workgroup_id_y 0
		.amdhsa_system_sgpr_workgroup_id_z 0
		.amdhsa_system_sgpr_workgroup_info 0
		.amdhsa_system_vgpr_workitem_id 0
		.amdhsa_next_free_vgpr 252
		.amdhsa_next_free_sgpr 14
		.amdhsa_reserve_vcc 1
		.amdhsa_float_round_mode_32 0
		.amdhsa_float_round_mode_16_64 0
		.amdhsa_float_denorm_mode_32 3
		.amdhsa_float_denorm_mode_16_64 3
		.amdhsa_fp16_overflow 0
		.amdhsa_workgroup_processor_mode 1
		.amdhsa_memory_ordered 1
		.amdhsa_forward_progress 0
		.amdhsa_round_robin_scheduling 0
		.amdhsa_exception_fp_ieee_invalid_op 0
		.amdhsa_exception_fp_denorm_src 0
		.amdhsa_exception_fp_ieee_div_zero 0
		.amdhsa_exception_fp_ieee_overflow 0
		.amdhsa_exception_fp_ieee_underflow 0
		.amdhsa_exception_fp_ieee_inexact 0
		.amdhsa_exception_int_div_zero 0
	.end_amdhsa_kernel
	.text
.Lfunc_end0:
	.size	bluestein_single_back_len544_dim1_sp_op_CI_CI, .Lfunc_end0-bluestein_single_back_len544_dim1_sp_op_CI_CI
                                        ; -- End function
	.section	.AMDGPU.csdata,"",@progbits
; Kernel info:
; codeLenInByte = 21792
; NumSgprs: 16
; NumVgprs: 252
; ScratchSize: 0
; MemoryBound: 0
; FloatMode: 240
; IeeeMode: 1
; LDSByteSize: 13056 bytes/workgroup (compile time only)
; SGPRBlocks: 1
; VGPRBlocks: 31
; NumSGPRsForWavesPerEU: 16
; NumVGPRsForWavesPerEU: 252
; Occupancy: 5
; WaveLimiterHint : 1
; COMPUTE_PGM_RSRC2:SCRATCH_EN: 0
; COMPUTE_PGM_RSRC2:USER_SGPR: 2
; COMPUTE_PGM_RSRC2:TRAP_HANDLER: 0
; COMPUTE_PGM_RSRC2:TGID_X_EN: 1
; COMPUTE_PGM_RSRC2:TGID_Y_EN: 0
; COMPUTE_PGM_RSRC2:TGID_Z_EN: 0
; COMPUTE_PGM_RSRC2:TIDIG_COMP_CNT: 0
	.text
	.p2alignl 7, 3214868480
	.fill 96, 4, 3214868480
	.type	__hip_cuid_8a99c1bf182c854,@object ; @__hip_cuid_8a99c1bf182c854
	.section	.bss,"aw",@nobits
	.globl	__hip_cuid_8a99c1bf182c854
__hip_cuid_8a99c1bf182c854:
	.byte	0                               ; 0x0
	.size	__hip_cuid_8a99c1bf182c854, 1

	.ident	"AMD clang version 19.0.0git (https://github.com/RadeonOpenCompute/llvm-project roc-6.4.0 25133 c7fe45cf4b819c5991fe208aaa96edf142730f1d)"
	.section	".note.GNU-stack","",@progbits
	.addrsig
	.addrsig_sym __hip_cuid_8a99c1bf182c854
	.amdgpu_metadata
---
amdhsa.kernels:
  - .args:
      - .actual_access:  read_only
        .address_space:  global
        .offset:         0
        .size:           8
        .value_kind:     global_buffer
      - .actual_access:  read_only
        .address_space:  global
        .offset:         8
        .size:           8
        .value_kind:     global_buffer
      - .actual_access:  read_only
        .address_space:  global
        .offset:         16
        .size:           8
        .value_kind:     global_buffer
      - .actual_access:  read_only
        .address_space:  global
        .offset:         24
        .size:           8
        .value_kind:     global_buffer
      - .actual_access:  read_only
        .address_space:  global
        .offset:         32
        .size:           8
        .value_kind:     global_buffer
      - .offset:         40
        .size:           8
        .value_kind:     by_value
      - .address_space:  global
        .offset:         48
        .size:           8
        .value_kind:     global_buffer
      - .address_space:  global
        .offset:         56
        .size:           8
        .value_kind:     global_buffer
      - .address_space:  global
        .offset:         64
        .size:           8
        .value_kind:     global_buffer
      - .address_space:  global
        .offset:         72
        .size:           8
        .value_kind:     global_buffer
      - .offset:         80
        .size:           4
        .value_kind:     by_value
      - .address_space:  global
        .offset:         88
        .size:           8
        .value_kind:     global_buffer
      - .address_space:  global
        .offset:         96
        .size:           8
        .value_kind:     global_buffer
    .group_segment_fixed_size: 13056
    .kernarg_segment_align: 8
    .kernarg_segment_size: 104
    .language:       OpenCL C
    .language_version:
      - 2
      - 0
    .max_flat_workgroup_size: 102
    .name:           bluestein_single_back_len544_dim1_sp_op_CI_CI
    .private_segment_fixed_size: 0
    .sgpr_count:     16
    .sgpr_spill_count: 0
    .symbol:         bluestein_single_back_len544_dim1_sp_op_CI_CI.kd
    .uniform_work_group_size: 1
    .uses_dynamic_stack: false
    .vgpr_count:     252
    .vgpr_spill_count: 0
    .wavefront_size: 32
    .workgroup_processor_mode: 1
amdhsa.target:   amdgcn-amd-amdhsa--gfx1201
amdhsa.version:
  - 1
  - 2
...

	.end_amdgpu_metadata
